;; amdgpu-corpus repo=ROCm/rocFFT kind=compiled arch=gfx1030 opt=O3
	.text
	.amdgcn_target "amdgcn-amd-amdhsa--gfx1030"
	.amdhsa_code_object_version 6
	.protected	bluestein_single_back_len1404_dim1_sp_op_CI_CI ; -- Begin function bluestein_single_back_len1404_dim1_sp_op_CI_CI
	.globl	bluestein_single_back_len1404_dim1_sp_op_CI_CI
	.p2align	8
	.type	bluestein_single_back_len1404_dim1_sp_op_CI_CI,@function
bluestein_single_back_len1404_dim1_sp_op_CI_CI: ; @bluestein_single_back_len1404_dim1_sp_op_CI_CI
; %bb.0:
	s_load_dwordx4 s[8:11], s[4:5], 0x28
	v_mul_u32_u24_e32 v1, 0x231, v0
	v_mov_b32_e32 v85, 0
	s_mov_b32 s0, exec_lo
	v_lshrrev_b32_e32 v1, 16, v1
	v_add_nc_u32_e32 v84, s6, v1
	s_waitcnt lgkmcnt(0)
	v_cmpx_gt_u64_e64 s[8:9], v[84:85]
	s_cbranch_execz .LBB0_10
; %bb.1:
	s_clause 0x1
	s_load_dwordx4 s[0:3], s[4:5], 0x18
	s_load_dwordx4 s[12:15], s[4:5], 0x0
	v_mul_lo_u16 v1, 0x75, v1
	v_sub_nc_u16 v16, v0, v1
	v_and_b32_e32 v107, 0xffff, v16
	v_lshlrev_b32_e32 v108, 3, v107
	v_add_nc_u32_e32 v105, 0x249, v107
	v_add_co_u32 v67, null, 0x15f, v107
	s_waitcnt lgkmcnt(0)
	s_load_dwordx4 s[16:19], s[0:1], 0x0
	v_add_co_u32 v12, s0, s12, v108
	v_add_co_ci_u32_e64 v13, null, s13, 0, s0
	s_clause 0x2
	global_load_dwordx2 v[97:98], v108, s[12:13]
	global_load_dwordx2 v[95:96], v108, s[12:13] offset:936
	global_load_dwordx2 v[82:83], v108, s[12:13] offset:1872
	v_add_co_u32 v0, vcc_lo, 0x1000, v12
	v_add_co_ci_u32_e32 v1, vcc_lo, 0, v13, vcc_lo
	v_add_co_u32 v2, vcc_lo, 0x1800, v12
	v_add_co_ci_u32_e32 v3, vcc_lo, 0, v13, vcc_lo
	v_add_co_u32 v6, vcc_lo, 0x800, v12
	v_add_co_ci_u32_e32 v7, vcc_lo, 0, v13, vcc_lo
	v_add_co_u32 v10, vcc_lo, 0x2000, v12
	s_waitcnt lgkmcnt(0)
	v_mad_u64_u32 v[4:5], null, s18, v84, 0
	v_mad_u64_u32 v[8:9], null, s16, v107, 0
	s_clause 0x4
	global_load_dwordx2 v[103:104], v[0:1], off offset:1520
	global_load_dwordx2 v[101:102], v[2:3], off offset:408
	;; [unrolled: 1-line block ×5, first 2 shown]
	v_add_co_ci_u32_e32 v11, vcc_lo, 0, v13, vcc_lo
	v_mad_u64_u32 v[14:15], null, s19, v84, v[5:6]
	v_mad_u64_u32 v[17:18], null, s17, v107, v[9:10]
	v_add_co_u32 v12, vcc_lo, 0x2800, v12
	v_add_co_ci_u32_e32 v13, vcc_lo, 0, v13, vcc_lo
	v_mov_b32_e32 v5, v14
	s_mul_i32 s0, s17, 0x15f0
	v_mov_b32_e32 v9, v17
	s_mul_hi_u32 s1, s16, 0x15f0
	s_mul_i32 s6, s16, 0x15f0
	v_lshlrev_b64 v[2:3], 3, v[4:5]
	s_add_i32 s1, s1, s0
	v_lshlrev_b64 v[4:5], 3, v[8:9]
	s_mul_hi_u32 s8, s16, 0xffffedb8
	s_mul_i32 s7, s17, 0xffffedb8
	s_mul_i32 s9, s16, 0xffffedb8
	v_add_co_u32 v2, vcc_lo, s10, v2
	v_add_co_ci_u32_e32 v3, vcc_lo, s11, v3, vcc_lo
	s_sub_i32 s0, s8, s16
	v_add_co_u32 v2, vcc_lo, v2, v4
	v_add_co_ci_u32_e32 v3, vcc_lo, v3, v5, vcc_lo
	s_add_i32 s0, s0, s7
	v_add_co_u32 v4, vcc_lo, v2, s6
	v_add_co_ci_u32_e32 v5, vcc_lo, s1, v3, vcc_lo
	s_clause 0x1
	global_load_dwordx2 v[93:94], v[10:11], off offset:232
	global_load_dwordx2 v[80:81], v[10:11], off offset:1168
	v_add_co_u32 v6, vcc_lo, v4, s9
	v_add_co_ci_u32_e32 v7, vcc_lo, s0, v5, vcc_lo
	s_clause 0x1
	global_load_dwordx2 v[2:3], v[2:3], off
	global_load_dwordx2 v[4:5], v[4:5], off
	v_add_co_u32 v8, vcc_lo, v6, s6
	v_add_co_ci_u32_e32 v9, vcc_lo, s1, v7, vcc_lo
	v_add_nc_u32_e32 v21, 0x1400, v108
	v_add_co_u32 v10, vcc_lo, v8, s9
	v_add_co_ci_u32_e32 v11, vcc_lo, s0, v9, vcc_lo
	s_clause 0x1
	global_load_dwordx2 v[6:7], v[6:7], off
	global_load_dwordx2 v[8:9], v[8:9], off
	v_add_co_u32 v14, vcc_lo, v10, s6
	v_add_co_ci_u32_e32 v15, vcc_lo, s1, v11, vcc_lo
	global_load_dwordx2 v[10:11], v[10:11], off
	v_add_co_u32 v17, vcc_lo, v14, s9
	v_add_co_ci_u32_e32 v18, vcc_lo, s0, v15, vcc_lo
	global_load_dwordx2 v[14:15], v[14:15], off
	v_add_co_u32 v19, vcc_lo, v17, s6
	v_add_co_ci_u32_e32 v20, vcc_lo, s1, v18, vcc_lo
	global_load_dwordx2 v[23:24], v[17:18], off
	v_add_co_u32 v17, vcc_lo, v19, s9
	v_add_co_ci_u32_e32 v18, vcc_lo, s0, v20, vcc_lo
	global_load_dwordx2 v[25:26], v[19:20], off
	v_add_co_u32 v19, vcc_lo, v17, s6
	v_add_co_ci_u32_e32 v20, vcc_lo, s1, v18, vcc_lo
	global_load_dwordx2 v[27:28], v[17:18], off
	v_add_co_u32 v17, vcc_lo, v19, s9
	v_add_co_ci_u32_e32 v18, vcc_lo, s0, v20, vcc_lo
	global_load_dwordx2 v[29:30], v[19:20], off
	v_add_co_u32 v19, vcc_lo, v17, s6
	v_add_co_ci_u32_e32 v20, vcc_lo, s1, v18, vcc_lo
	global_load_dwordx2 v[87:88], v[0:1], off offset:584
	global_load_dwordx2 v[0:1], v[17:18], off
	global_load_dwordx2 v[89:90], v[12:13], off offset:56
	global_load_dwordx2 v[12:13], v[19:20], off
	v_add_co_u32 v68, s0, 0x75, v107
	v_add_co_ci_u32_e64 v69, null, 0, 0, s0
	v_add_co_u32 v66, s0, 0xea, v107
	v_add_nc_u32_e32 v18, 0x1800, v108
	v_add_co_ci_u32_e64 v17, null, 0, 0, s0
	v_add_nc_u32_e32 v19, 0x400, v108
	v_add_nc_u32_e32 v17, 0x2000, v108
	;; [unrolled: 1-line block ×4, first 2 shown]
	s_load_dwordx4 s[8:11], s[2:3], 0x0
	v_and_b32_e32 v43, 1, v107
	v_lshlrev_b32_e32 v42, 1, v107
	v_and_b32_e32 v44, 1, v105
	v_lshlrev_b32_e32 v78, 4, v107
	;; [unrolled: 2-line block ×3, first 2 shown]
	v_lshlrev_b32_e32 v112, 4, v66
	v_lshlrev_b32_e32 v114, 4, v67
	;; [unrolled: 1-line block ×6, first 2 shown]
	v_add_nc_u32_e32 v106, 0x3a8, v42
	v_cmp_gt_u16_e32 vcc_lo, 0x6c, v16
	v_lshrrev_b32_e32 v16, 2, v68
	s_load_dwordx2 s[2:3], s[4:5], 0x38
	v_mul_u32_u24_e32 v16, 12, v16
	s_waitcnt vmcnt(13)
	v_mul_f32_e32 v31, v3, v98
	v_mul_f32_e32 v32, v2, v98
	s_waitcnt vmcnt(12)
	v_mul_f32_e32 v34, v4, v104
	v_fmac_f32_e32 v31, v2, v97
	v_mul_f32_e32 v2, v5, v104
	v_fma_f32 v32, v3, v97, -v32
	v_fma_f32 v3, v5, v103, -v34
	s_waitcnt vmcnt(11)
	v_mul_f32_e32 v33, v7, v96
	v_fmac_f32_e32 v2, v4, v103
	v_mul_f32_e32 v35, v6, v96
	s_waitcnt vmcnt(10)
	v_mul_f32_e32 v4, v9, v102
	v_mul_f32_e32 v5, v8, v102
	v_fmac_f32_e32 v33, v6, v95
	ds_write_b64 v108, v[2:3] offset:5616
	s_waitcnt vmcnt(9)
	v_mul_f32_e32 v2, v11, v83
	v_mul_f32_e32 v3, v10, v83
	v_fma_f32 v34, v7, v95, -v35
	v_fmac_f32_e32 v4, v8, v101
	s_waitcnt vmcnt(8)
	v_mul_f32_e32 v6, v15, v100
	v_mul_f32_e32 v7, v14, v100
	v_fma_f32 v5, v9, v101, -v5
	v_fmac_f32_e32 v2, v10, v82
	v_fma_f32 v3, v11, v82, -v3
	s_waitcnt vmcnt(7)
	v_mul_f32_e32 v8, v24, v92
	v_mul_f32_e32 v9, v23, v92
	v_fmac_f32_e32 v6, v14, v99
	v_fma_f32 v7, v15, v99, -v7
	ds_write2_b64 v108, v[31:32], v[33:34] offset1:117
	s_waitcnt vmcnt(6)
	v_mul_f32_e32 v10, v26, v94
	v_mul_f32_e32 v11, v25, v94
	v_fmac_f32_e32 v8, v23, v91
	v_fma_f32 v9, v24, v91, -v9
	s_waitcnt vmcnt(5)
	v_mul_f32_e32 v14, v28, v86
	v_mul_f32_e32 v15, v27, v86
	v_fmac_f32_e32 v10, v25, v93
	v_fma_f32 v11, v26, v93, -v11
	s_waitcnt vmcnt(4)
	v_mul_f32_e32 v23, v30, v81
	v_mul_f32_e32 v24, v29, v81
	v_fmac_f32_e32 v14, v27, v85
	s_waitcnt vmcnt(2)
	v_mul_f32_e32 v25, v1, v88
	v_mul_f32_e32 v26, v0, v88
	v_fma_f32 v15, v28, v85, -v15
	s_waitcnt vmcnt(0)
	v_mul_f32_e32 v27, v13, v90
	v_mul_f32_e32 v28, v12, v90
	v_fmac_f32_e32 v23, v29, v80
	v_fma_f32 v24, v30, v80, -v24
	v_fmac_f32_e32 v25, v0, v87
	v_fma_f32 v26, v1, v87, -v26
	;; [unrolled: 2-line block ×3, first 2 shown]
	ds_write2_b64 v18, v[4:5], v[6:7] offset0:51 offset1:168
	ds_write2_b64 v19, v[2:3], v[8:9] offset0:106 offset1:223
	;; [unrolled: 1-line block ×4, first 2 shown]
	ds_write_b64 v108, v[27:28] offset:10296
	s_waitcnt lgkmcnt(0)
	s_barrier
	buffer_gl0_inv
	ds_read2_b64 v[0:3], v108 offset1:117
	ds_read2_b64 v[4:7], v21 offset0:62 offset1:179
	v_add_nc_u32_e32 v23, 0x2400, v108
	ds_read2_b64 v[8:11], v19 offset0:106 offset1:223
	ds_read2_b64 v[12:15], v22 offset0:40 offset1:157
	;; [unrolled: 1-line block ×4, first 2 shown]
	s_waitcnt lgkmcnt(0)
	s_barrier
	buffer_gl0_inv
	v_sub_f32_e32 v32, v0, v4
	v_sub_f32_e32 v33, v1, v5
	;; [unrolled: 1-line block ×12, first 2 shown]
	v_fma_f32 v30, v0, 2.0, -v32
	v_fma_f32 v31, v1, 2.0, -v33
	v_fma_f32 v2, v2, 2.0, -v4
	v_fma_f32 v3, v3, 2.0, -v5
	v_fma_f32 v34, v8, 2.0, -v36
	v_fma_f32 v35, v9, 2.0, -v37
	v_fma_f32 v10, v10, 2.0, -v12
	v_fma_f32 v11, v11, 2.0, -v13
	v_fma_f32 v38, v24, 2.0, -v40
	v_fma_f32 v39, v25, 2.0, -v41
	v_fma_f32 v26, v26, 2.0, -v28
	v_fma_f32 v27, v27, 2.0, -v29
	ds_write_b128 v78, v[30:33]
	ds_write_b128 v113, v[2:5]
	;; [unrolled: 1-line block ×4, first 2 shown]
	ds_write_b128 v70, v[38:41] offset:7488
	ds_write_b128 v78, v[26:29] offset:9360
	v_lshlrev_b32_e32 v0, 3, v46
	v_and_b32_e32 v4, 1, v68
	s_waitcnt lgkmcnt(0)
	s_barrier
	buffer_gl0_inv
	s_clause 0x2
	global_load_dwordx2 v[72:73], v45, s[14:15]
	global_load_dwordx2 v[74:75], v47, s[14:15]
	;; [unrolled: 1-line block ×3, first 2 shown]
	v_lshlrev_b32_e32 v0, 3, v4
	s_clause 0x1
	global_load_dword v111, v47, s[14:15] offset:4
	global_load_dword v79, v0, s[14:15]
	v_and_or_b32 v0, 0xfc, v42, v43
	v_lshlrev_b32_e32 v5, 1, v66
	v_lshlrev_b32_e32 v6, 1, v67
	;; [unrolled: 1-line block ×3, first 2 shown]
	v_and_or_b32 v12, 0x1fc, v71, v4
	v_lshlrev_b32_e32 v118, 3, v0
	ds_read2_b64 v[0:3], v21 offset0:62 offset1:179
	v_and_or_b32 v13, 0x3fc, v5, v43
	v_and_or_b32 v14, 0x3fc, v6, v46
	ds_read2_b64 v[4:7], v22 offset0:40 offset1:157
	v_and_or_b32 v24, 0x5fc, v8, v44
	ds_read2_b64 v[8:11], v23 offset0:18 offset1:135
	v_and_or_b32 v15, 0x7fc, v106, v43
	v_lshlrev_b32_e32 v120, 3, v12
	v_lshlrev_b32_e32 v119, 3, v13
	;; [unrolled: 1-line block ×5, first 2 shown]
	ds_read2_b64 v[12:15], v108 offset1:117
	ds_read2_b64 v[24:27], v19 offset0:106 offset1:223
	ds_read2_b64 v[28:31], v20 offset0:84 offset1:201
	v_and_b32_e32 v32, 3, v107
	v_and_b32_e32 v35, 3, v66
	;; [unrolled: 1-line block ×4, first 2 shown]
	s_waitcnt vmcnt(0) lgkmcnt(0)
	v_lshlrev_b32_e32 v33, 4, v32
	s_barrier
	buffer_gl0_inv
	v_lshlrev_b32_e32 v37, 4, v34
	v_or_b32_e32 v16, v16, v34
	v_lshlrev_b32_e32 v123, 3, v16
	v_mul_f32_e32 v38, v1, v73
	v_mul_f32_e32 v39, v0, v73
	;; [unrolled: 1-line block ×12, first 2 shown]
	v_fma_f32 v0, v0, v72, -v38
	v_fmac_f32_e32 v39, v1, v72
	v_fma_f32 v2, v2, v79, -v40
	v_fmac_f32_e32 v41, v3, v79
	;; [unrolled: 2-line block ×6, first 2 shown]
	v_sub_f32_e32 v0, v12, v0
	v_sub_f32_e32 v1, v13, v39
	;; [unrolled: 1-line block ×12, first 2 shown]
	v_fma_f32 v12, v12, 2.0, -v0
	v_fma_f32 v13, v13, 2.0, -v1
	;; [unrolled: 1-line block ×12, first 2 shown]
	ds_write2_b64 v118, v[12:13], v[0:1] offset1:2
	ds_write2_b64 v120, v[14:15], v[2:3] offset1:2
	;; [unrolled: 1-line block ×6, first 2 shown]
	v_lshlrev_b32_e32 v0, 4, v35
	v_lshlrev_b32_e32 v1, 4, v36
	s_waitcnt lgkmcnt(0)
	s_barrier
	buffer_gl0_inv
	s_clause 0x3
	global_load_dwordx4 v[12:15], v33, s[14:15] offset:16
	global_load_dwordx4 v[8:11], v37, s[14:15] offset:16
	;; [unrolled: 1-line block ×4, first 2 shown]
	v_lshrrev_b32_e32 v24, 2, v107
	v_lshrrev_b32_e32 v28, 2, v66
	;; [unrolled: 1-line block ×3, first 2 shown]
	v_mul_u32_u24_e32 v33, 12, v24
	v_mul_u32_u24_e32 v37, 12, v28
	;; [unrolled: 1-line block ×3, first 2 shown]
	ds_read2_b64 v[24:27], v20 offset0:84 offset1:201
	ds_read2_b64 v[28:31], v22 offset0:40 offset1:157
	v_or_b32_e32 v22, v33, v32
	v_or_b32_e32 v40, v37, v35
	ds_read2_b64 v[32:35], v21 offset0:62 offset1:179
	v_or_b32_e32 v21, v38, v36
	ds_read2_b64 v[36:39], v23 offset0:18 offset1:135
	ds_read2_b64 v[44:47], v108 offset1:117
	ds_read2_b64 v[48:51], v19 offset0:106 offset1:223
	v_lshlrev_b32_e32 v124, 3, v22
	v_lshlrev_b32_e32 v122, 3, v40
	;; [unrolled: 1-line block ×3, first 2 shown]
	s_waitcnt vmcnt(0) lgkmcnt(0)
	s_barrier
	buffer_gl0_inv
	v_mul_f32_e32 v16, v25, v13
	v_mul_f32_e32 v21, v24, v13
	;; [unrolled: 1-line block ×16, first 2 shown]
	v_fma_f32 v16, v24, v12, -v16
	v_fmac_f32_e32 v21, v25, v12
	v_fma_f32 v22, v26, v8, -v22
	v_fmac_f32_e32 v23, v27, v8
	;; [unrolled: 2-line block ×8, first 2 shown]
	v_sub_f32_e32 v30, v21, v41
	v_add_f32_e32 v31, v45, v21
	v_add_f32_e32 v21, v21, v41
	v_add_f32_e32 v33, v16, v24
	v_sub_f32_e32 v34, v23, v43
	v_add_f32_e32 v35, v47, v23
	v_add_f32_e32 v23, v23, v43
	v_add_f32_e32 v37, v22, v25
	;; [unrolled: 4-line block ×3, first 2 shown]
	v_add_f32_e32 v56, v26, v28
	v_add_f32_e32 v53, v51, v55
	;; [unrolled: 1-line block ×5, first 2 shown]
	v_sub_f32_e32 v16, v16, v24
	v_add_f32_e32 v36, v46, v22
	v_sub_f32_e32 v22, v22, v25
	v_sub_f32_e32 v26, v26, v28
	;; [unrolled: 1-line block ×3, first 2 shown]
	v_add_f32_e32 v58, v50, v27
	v_sub_f32_e32 v27, v27, v29
	v_add_f32_e32 v61, v39, v57
	v_add_f32_e32 v60, v52, v28
	;; [unrolled: 1-line block ×3, first 2 shown]
	v_fma_f32 v52, -0.5, v33, v44
	v_fma_f32 v53, -0.5, v21, v45
	;; [unrolled: 1-line block ×3, first 2 shown]
	v_fmac_f32_e32 v47, -0.5, v23
	v_fma_f32 v56, -0.5, v56, v48
	v_fma_f32 v57, -0.5, v42, v49
	;; [unrolled: 1-line block ×3, first 2 shown]
	v_fmac_f32_e32 v51, -0.5, v62
	v_add_f32_e32 v41, v31, v41
	v_add_f32_e32 v40, v32, v24
	;; [unrolled: 1-line block ×5, first 2 shown]
	v_fmamk_f32 v42, v30, 0x3f5db3d7, v52
	v_fmac_f32_e32 v52, 0xbf5db3d7, v30
	v_fmamk_f32 v43, v16, 0xbf5db3d7, v53
	v_fmac_f32_e32 v53, 0x3f5db3d7, v16
	;; [unrolled: 2-line block ×8, first 2 shown]
	ds_write2_b64 v124, v[40:41], v[42:43] offset1:4
	ds_write_b64 v124, v[52:53] offset:64
	ds_write2_b64 v123, v[54:55], v[44:45] offset1:4
	ds_write_b64 v123, v[46:47] offset:64
	;; [unrolled: 2-line block ×4, first 2 shown]
	s_waitcnt lgkmcnt(0)
	s_barrier
	buffer_gl0_inv
                                        ; implicit-def: $vgpr64
	s_and_saveexec_b32 s0, vcc_lo
	s_cbranch_execz .LBB0_3
; %bb.2:
	v_add_nc_u32_e32 v16, 0x1000, v108
	ds_read2_b64 v[40:43], v108 offset1:108
	ds_read2_b64 v[52:55], v19 offset0:88 offset1:196
	ds_read2_b64 v[44:47], v20 offset0:48 offset1:156
	;; [unrolled: 1-line block ×5, first 2 shown]
	ds_read_b64 v[64:65], v108 offset:10368
.LBB0_3:
	s_or_b32 exec_lo, exec_lo, s0
	v_and_b32_e32 v16, 0xff, v107
	v_mul_lo_u16 v16, 0xab, v16
	v_lshrrev_b16 v110, 11, v16
	v_mul_lo_u16 v16, v110, 12
	v_sub_nc_u16 v16, v107, v16
	v_and_b32_e32 v109, 0xff, v16
	v_mad_u64_u32 v[36:37], null, 0x60, v109, s[14:15]
	s_clause 0x5
	global_load_dwordx4 v[28:31], v[36:37], off offset:80
	global_load_dwordx4 v[24:27], v[36:37], off offset:96
	;; [unrolled: 1-line block ×6, first 2 shown]
	s_waitcnt vmcnt(0) lgkmcnt(0)
	s_barrier
	buffer_gl0_inv
	v_mul_f32_e32 v128, v43, v29
	v_mul_f32_e32 v139, v42, v29
	;; [unrolled: 1-line block ×12, first 2 shown]
	v_fma_f32 v145, v42, v28, -v128
	v_fmac_f32_e32 v139, v43, v28
	v_fmac_f32_e32 v133, v61, v18
	v_fma_f32 v61, v58, v32, -v149
	v_fma_f32 v58, v64, v38, -v152
	v_fmac_f32_e32 v125, v65, v38
	v_mul_f32_e32 v138, v55, v25
	v_mul_f32_e32 v136, v54, v25
	;; [unrolled: 1-line block ×7, first 2 shown]
	v_fma_f32 v144, v52, v30, -v129
	v_fmac_f32_e32 v137, v53, v30
	v_fmac_f32_e32 v130, v59, v32
	v_fma_f32 v59, v50, v36, -v151
	v_fmac_f32_e32 v126, v51, v36
	v_sub_f32_e32 v166, v145, v58
	v_sub_f32_e32 v155, v139, v125
	v_mul_f32_e32 v135, v44, v27
	v_mul_f32_e32 v134, v46, v17
	;; [unrolled: 1-line block ×3, first 2 shown]
	v_fma_f32 v143, v54, v24, -v138
	v_fmac_f32_e32 v136, v55, v24
	v_fma_f32 v142, v44, v26, -v140
	v_fma_f32 v141, v46, v16, -v141
	;; [unrolled: 1-line block ×3, first 2 shown]
	v_fmac_f32_e32 v131, v57, v22
	v_fma_f32 v60, v48, v34, -v150
	v_fmac_f32_e32 v127, v49, v34
	v_add_f32_e32 v46, v145, v58
	v_add_f32_e32 v57, v139, v125
	v_sub_f32_e32 v157, v144, v59
	v_sub_f32_e32 v156, v137, v126
	v_mul_f32_e32 v153, 0xbeedf032, v155
	v_mul_f32_e32 v154, 0xbeedf032, v166
	v_mul_f32_e32 v147, v63, v21
	v_fmac_f32_e32 v135, v45, v26
	v_fmac_f32_e32 v134, v47, v16
	v_add_f32_e32 v47, v144, v59
	v_add_f32_e32 v50, v137, v126
	v_sub_f32_e32 v159, v143, v60
	v_sub_f32_e32 v158, v136, v127
	v_mul_f32_e32 v149, 0xbf52af12, v156
	v_mul_f32_e32 v152, 0xbf52af12, v157
	v_fmamk_f32 v42, v46, 0x3f62ad3f, v153
	v_fma_f32 v43, 0x3f62ad3f, v57, -v154
	v_mul_f32_e32 v132, v62, v21
	v_fma_f32 v138, v62, v20, -v147
	v_fma_f32 v62, v56, v22, -v148
	v_add_f32_e32 v48, v143, v60
	v_add_f32_e32 v54, v136, v127
	v_sub_f32_e32 v161, v142, v61
	v_sub_f32_e32 v160, v135, v130
	v_mul_f32_e32 v147, 0xbf7e222b, v158
	v_mul_f32_e32 v150, 0xbf7e222b, v159
	v_fmamk_f32 v44, v47, 0x3f116cb1, v149
	v_fma_f32 v45, 0x3f116cb1, v50, -v152
	v_add_f32_e32 v42, v40, v42
	v_add_f32_e32 v43, v41, v43
	v_fmac_f32_e32 v132, v63, v20
	v_add_f32_e32 v51, v142, v61
	v_add_f32_e32 v56, v135, v130
	v_sub_f32_e32 v163, v141, v62
	v_sub_f32_e32 v162, v134, v131
	v_mul_f32_e32 v64, 0xbf6f5d39, v160
	v_mul_f32_e32 v146, 0xbf6f5d39, v161
	v_fmamk_f32 v128, v48, 0x3df6dbef, v147
	v_fma_f32 v129, 0x3df6dbef, v54, -v150
	v_add_f32_e32 v42, v44, v42
	v_add_f32_e32 v43, v45, v43
	;; [unrolled: 1-line block ×4, first 2 shown]
	v_sub_f32_e32 v165, v140, v138
	v_sub_f32_e32 v164, v133, v132
	v_mul_f32_e32 v63, 0xbf29c268, v162
	v_mul_f32_e32 v148, 0xbf29c268, v163
	v_fmamk_f32 v44, v51, 0xbeb58ec6, v64
	v_fma_f32 v45, 0xbeb58ec6, v56, -v146
	v_add_f32_e32 v42, v128, v42
	v_add_f32_e32 v43, v129, v43
	v_add_f32_e32 v53, v140, v138
	v_add_f32_e32 v55, v133, v132
	v_mul_f32_e32 v65, 0xbe750f2a, v164
	v_mul_f32_e32 v151, 0xbe750f2a, v165
	v_fmamk_f32 v128, v49, 0xbf3f9e67, v63
	v_fma_f32 v129, 0xbf3f9e67, v52, -v148
	v_add_f32_e32 v42, v44, v42
	v_add_f32_e32 v43, v45, v43
	v_fmamk_f32 v44, v53, 0xbf788fa5, v65
	v_fma_f32 v45, 0xbf788fa5, v55, -v151
	v_add_f32_e32 v42, v128, v42
	v_add_f32_e32 v43, v129, v43
	v_lshlrev_b32_e32 v129, 3, v106
	v_lshlrev_b32_e32 v128, 4, v105
	v_add_f32_e32 v105, v44, v42
	v_add_f32_e32 v106, v45, v43
	s_and_saveexec_b32 s0, vcc_lo
	s_cbranch_execz .LBB0_5
; %bb.4:
	v_mul_f32_e32 v171, 0x3df6dbef, v57
	v_mul_f32_e32 v172, 0xbf788fa5, v50
	;; [unrolled: 1-line block ×5, first 2 shown]
	v_fmamk_f32 v42, v166, 0x3f7e222b, v171
	v_fmamk_f32 v43, v157, 0x3e750f2a, v172
	v_mul_f32_e32 v188, 0xbe750f2a, v156
	v_fmamk_f32 v44, v46, 0x3df6dbef, v185
	v_mul_f32_e32 v189, 0x3f116cb1, v52
	v_add_f32_e32 v42, v41, v42
	v_mul_f32_e32 v190, 0x3f6f5d39, v158
	v_fmamk_f32 v45, v47, 0xbf788fa5, v188
	v_add_f32_e32 v44, v40, v44
	v_mul_f32_e32 v191, 0xbf3f9e67, v55
	v_add_f32_e32 v42, v43, v42
	v_fmamk_f32 v43, v159, 0xbf6f5d39, v182
	v_mul_f32_e32 v192, 0x3eedf032, v160
	v_add_f32_e32 v44, v45, v44
	v_fmamk_f32 v45, v48, 0xbeb58ec6, v190
	;; [unrolled: 3-line block ×6, first 2 shown]
	v_fmamk_f32 v168, v157, 0xbf7e222b, v169
	v_add_f32_e32 v42, v43, v42
	v_fmamk_f32 v43, v165, 0x3f29c268, v191
	v_mul_f32_e32 v170, 0x3f116cb1, v54
	v_add_f32_e32 v44, v45, v44
	v_fmamk_f32 v45, v53, 0xbf3f9e67, v194
	v_mul_f32_e32 v195, 0xbf29c268, v155
	v_add_f32_e32 v43, v43, v42
	v_fmamk_f32 v42, v166, 0x3f29c268, v167
	v_fmamk_f32 v196, v159, 0x3f52af12, v170
	v_mul_f32_e32 v197, 0xbf788fa5, v56
	v_mul_f32_e32 v198, 0x3f7e222b, v156
	;; [unrolled: 1-line block ×3, first 2 shown]
	v_add_f32_e32 v42, v41, v42
	v_mul_f32_e32 v201, 0xbeb58ec6, v55
	v_mul_f32_e32 v202, 0x3e750f2a, v160
	v_fmamk_f32 v199, v47, 0x3df6dbef, v198
	v_mul_f32_e32 v203, 0xbe750f2a, v166
	v_add_f32_e32 v168, v168, v42
	v_add_f32_e32 v42, v45, v44
	v_fmamk_f32 v44, v46, 0xbf3f9e67, v195
	v_mul_f32_e32 v204, 0x3eedf032, v162
	v_mul_f32_e32 v205, 0x3eedf032, v157
	v_add_f32_e32 v45, v196, v168
	v_fmamk_f32 v168, v161, 0xbe750f2a, v197
	v_mul_f32_e32 v196, 0x3f62ad3f, v52
	v_add_f32_e32 v44, v40, v44
	v_mul_f32_e32 v206, 0xbf6f5d39, v164
	v_fmamk_f32 v207, v50, 0x3f62ad3f, v205
	v_add_f32_e32 v45, v168, v45
	v_fmamk_f32 v168, v163, 0xbeedf032, v196
	v_add_f32_e32 v44, v199, v44
	v_fmamk_f32 v199, v48, 0x3f116cb1, v200
	v_mul_f32_e32 v208, 0xbf29c268, v159
	v_mul_f32_e32 v209, 0xbe750f2a, v155
	v_add_f32_e32 v45, v168, v45
	v_fmamk_f32 v168, v165, 0x3f6f5d39, v201
	v_add_f32_e32 v44, v199, v44
	v_fmamk_f32 v199, v51, 0xbf788fa5, v202
	v_mul_f32_e32 v210, 0x3f52af12, v161
	v_mul_f32_e32 v211, 0x3eedf032, v156
	v_add_f32_e32 v45, v168, v45
	v_fmamk_f32 v168, v57, 0xbf788fa5, v203
	v_add_f32_e32 v44, v199, v44
	v_fmamk_f32 v199, v49, 0x3f62ad3f, v204
	v_mul_f32_e32 v212, 0xbf6f5d39, v163
	v_fma_f32 v213, 0x3f62ad3f, v47, -v211
	v_add_f32_e32 v168, v41, v168
	v_mul_f32_e32 v214, 0xbf29c268, v158
	v_add_f32_e32 v44, v199, v44
	v_fmamk_f32 v199, v53, 0xbeb58ec6, v206
	v_mul_f32_e32 v215, 0x3f7e222b, v165
	v_add_f32_e32 v168, v207, v168
	v_fmamk_f32 v207, v54, 0xbf3f9e67, v208
	v_fmac_f32_e32 v167, 0xbf29c268, v166
	v_add_f32_e32 v44, v199, v44
	v_fma_f32 v199, 0xbf788fa5, v46, -v209
	v_mul_f32_e32 v216, 0x3f52af12, v160
	v_add_f32_e32 v168, v207, v168
	v_fmamk_f32 v207, v56, 0x3f116cb1, v210
	v_add_f32_e32 v167, v41, v167
	v_add_f32_e32 v199, v40, v199
	v_fmac_f32_e32 v169, 0x3f7e222b, v157
	v_add_f32_e32 v139, v41, v139
	v_add_f32_e32 v168, v207, v168
	v_fmamk_f32 v207, v52, 0xbeb58ec6, v212
	v_add_f32_e32 v199, v213, v199
	v_fma_f32 v213, 0xbf3f9e67, v48, -v214
	v_fma_f32 v195, 0xbf3f9e67, v46, -v195
	v_add_f32_e32 v167, v169, v167
	v_add_f32_e32 v168, v207, v168
	v_fmamk_f32 v207, v55, 0x3df6dbef, v215
	v_add_f32_e32 v199, v213, v199
	v_fma_f32 v213, 0x3f116cb1, v51, -v216
	v_fmac_f32_e32 v170, 0xbf52af12, v159
	v_add_f32_e32 v137, v139, v137
	v_add_f32_e32 v168, v207, v168
	v_mul_f32_e32 v207, 0xbf6f5d39, v162
	v_add_f32_e32 v139, v40, v145
	v_add_f32_e32 v199, v213, v199
	v_mul_f32_e32 v213, 0x3f7e222b, v164
	v_add_f32_e32 v195, v40, v195
	v_fma_f32 v169, 0xbeb58ec6, v49, -v207
	v_fma_f32 v198, 0x3df6dbef, v47, -v198
	v_add_f32_e32 v167, v170, v167
	v_fmac_f32_e32 v197, 0x3e750f2a, v161
	v_add_f32_e32 v136, v137, v136
	v_add_f32_e32 v137, v139, v144
	;; [unrolled: 1-line block ×3, first 2 shown]
	v_fma_f32 v170, 0x3df6dbef, v53, -v213
	v_add_f32_e32 v195, v198, v195
	v_fma_f32 v198, 0x3f116cb1, v48, -v200
	v_add_f32_e32 v197, v197, v167
	v_fmac_f32_e32 v196, 0x3eedf032, v163
	v_add_f32_e32 v135, v136, v135
	v_add_f32_e32 v136, v137, v143
	;; [unrolled: 1-line block ×4, first 2 shown]
	v_fma_f32 v170, 0xbf788fa5, v51, -v202
	v_add_f32_e32 v195, v196, v197
	v_fmac_f32_e32 v201, 0xbf6f5d39, v165
	v_mul_f32_e32 v173, 0x3f62ad3f, v46
	v_add_f32_e32 v134, v135, v134
	v_add_f32_e32 v135, v136, v142
	;; [unrolled: 1-line block ×4, first 2 shown]
	v_mul_f32_e32 v195, 0xbf6f5d39, v155
	v_mul_f32_e32 v175, 0x3f116cb1, v47
	v_sub_f32_e32 v153, v173, v153
	v_add_f32_e32 v133, v134, v133
	v_add_f32_e32 v134, v135, v141
	v_fma_f32 v198, 0x3f62ad3f, v49, -v204
	v_fma_f32 v201, 0xbeb58ec6, v53, -v206
	;; [unrolled: 1-line block ×3, first 2 shown]
	v_mul_f32_e32 v206, 0x3f29c268, v156
	v_mul_f32_e32 v177, 0x3df6dbef, v48
	v_add_f32_e32 v153, v40, v153
	v_sub_f32_e32 v139, v175, v149
	v_add_f32_e32 v132, v133, v132
	v_add_f32_e32 v133, v134, v140
	;; [unrolled: 1-line block ×4, first 2 shown]
	v_fma_f32 v218, 0xbf3f9e67, v47, -v206
	v_mul_f32_e32 v219, 0x3eedf032, v158
	v_fmac_f32_e32 v171, 0xbf7e222b, v166
	v_mul_f32_e32 v179, 0xbeb58ec6, v51
	v_add_f32_e32 v137, v139, v153
	v_sub_f32_e32 v139, v177, v147
	v_add_f32_e32 v131, v132, v131
	v_add_f32_e32 v132, v133, v138
	;; [unrolled: 1-line block ×4, first 2 shown]
	v_fma_f32 v204, 0x3f62ad3f, v48, -v219
	v_mul_f32_e32 v218, 0xbf7e222b, v160
	v_add_f32_e32 v171, v41, v171
	v_fmac_f32_e32 v172, 0xbe750f2a, v157
	v_fma_f32 v185, 0x3df6dbef, v46, -v185
	v_mul_f32_e32 v181, 0xbf3f9e67, v49
	v_add_f32_e32 v137, v139, v137
	v_sub_f32_e32 v64, v179, v64
	v_add_f32_e32 v130, v131, v130
	v_add_f32_e32 v131, v132, v62
	;; [unrolled: 1-line block ×3, first 2 shown]
	v_fma_f32 v204, 0x3df6dbef, v51, -v218
	v_mul_f32_e32 v221, 0x3e750f2a, v162
	v_add_f32_e32 v171, v172, v171
	v_fmac_f32_e32 v182, 0x3f6f5d39, v159
	v_add_f32_e32 v185, v40, v185
	v_fma_f32 v188, 0xbf788fa5, v47, -v188
	v_mul_f32_e32 v184, 0xbf788fa5, v53
	v_add_f32_e32 v64, v64, v137
	v_sub_f32_e32 v63, v181, v63
	v_add_f32_e32 v61, v131, v61
	v_add_f32_e32 v201, v204, v201
	v_fma_f32 v172, 0xbf788fa5, v49, -v221
	v_mul_f32_e32 v204, 0x3f52af12, v164
	v_add_f32_e32 v171, v182, v171
	v_fmac_f32_e32 v186, 0x3eedf032, v161
	v_add_f32_e32 v185, v188, v185
	v_fma_f32 v188, 0xbeb58ec6, v48, -v190
	v_add_f32_e32 v64, v63, v64
	v_sub_f32_e32 v65, v184, v65
	v_fma_f32 v132, 0xbf788fa5, v57, -v203
	v_add_f32_e32 v61, v61, v60
	v_add_f32_e32 v182, v172, v201
	v_fma_f32 v190, 0x3f116cb1, v53, -v204
	v_add_f32_e32 v186, v186, v171
	v_fmac_f32_e32 v189, 0xbf52af12, v163
	v_mul_f32_e32 v199, 0xbf6f5d39, v166
	v_add_f32_e32 v185, v188, v185
	v_fma_f32 v188, 0x3f62ad3f, v51, -v192
	v_add_f32_e32 v62, v65, v64
	v_fmac_f32_e32 v209, 0xbf788fa5, v46
	v_add_f32_e32 v64, v130, v127
	v_add_f32_e32 v65, v41, v132
	v_fma_f32 v127, 0x3f62ad3f, v50, -v205
	v_add_f32_e32 v59, v61, v59
	v_mul_f32_e32 v174, 0x3f62ad3f, v57
	v_add_f32_e32 v171, v190, v182
	v_add_f32_e32 v182, v189, v186
	v_mul_f32_e32 v186, 0xbf52af12, v166
	v_fmamk_f32 v196, v57, 0xbeb58ec6, v199
	v_mul_f32_e32 v197, 0x3f29c268, v157
	v_fmac_f32_e32 v191, 0xbf29c268, v165
	v_add_f32_e32 v185, v188, v185
	v_fma_f32 v188, 0x3f116cb1, v49, -v193
	v_mul_f32_e32 v189, 0xbf52af12, v155
	v_add_f32_e32 v130, v40, v209
	v_fmac_f32_e32 v211, 0x3f62ad3f, v47
	v_add_f32_e32 v64, v64, v126
	v_add_f32_e32 v65, v127, v65
	v_fma_f32 v126, 0xbf3f9e67, v54, -v208
	v_add_f32_e32 v59, v59, v58
	v_fma_f32 v58, 0xbeb58ec6, v57, -v199
	v_mul_f32_e32 v176, 0x3f116cb1, v50
	v_fmamk_f32 v155, v57, 0x3f116cb1, v186
	v_mul_f32_e32 v157, 0xbf6f5d39, v157
	v_add_f32_e32 v174, v154, v174
	v_fma_f32 v57, 0x3f116cb1, v57, -v186
	v_add_f32_e32 v196, v41, v196
	v_fmamk_f32 v200, v50, 0xbf3f9e67, v197
	v_mul_f32_e32 v202, 0x3eedf032, v159
	v_add_f32_e32 v166, v191, v182
	v_add_f32_e32 v182, v188, v185
	v_fma_f32 v185, 0x3f116cb1, v46, -v189
	v_mul_f32_e32 v156, 0xbf6f5d39, v156
	v_add_f32_e32 v127, v211, v130
	v_fmac_f32_e32 v214, 0xbf3f9e67, v48
	v_add_f32_e32 v60, v64, v125
	v_add_f32_e32 v61, v126, v65
	v_fma_f32 v64, 0x3f116cb1, v56, -v210
	v_add_f32_e32 v58, v41, v58
	v_fma_f32 v125, 0xbf3f9e67, v50, -v197
	v_fmac_f32_e32 v195, 0xbeb58ec6, v46
	v_mul_f32_e32 v178, 0x3df6dbef, v54
	v_add_f32_e32 v155, v41, v155
	v_fmamk_f32 v188, v50, 0xbeb58ec6, v157
	v_mul_f32_e32 v159, 0xbe750f2a, v159
	v_add_f32_e32 v145, v41, v174
	v_add_f32_e32 v152, v152, v176
	v_fmac_f32_e32 v189, 0x3f116cb1, v46
	v_add_f32_e32 v41, v41, v57
	v_fma_f32 v50, 0xbeb58ec6, v50, -v157
	v_add_f32_e32 v196, v200, v196
	v_fmamk_f32 v198, v54, 0x3f62ad3f, v202
	v_mul_f32_e32 v200, 0xbf7e222b, v161
	v_add_f32_e32 v185, v40, v185
	v_fma_f32 v190, 0xbeb58ec6, v47, -v156
	v_mul_f32_e32 v158, 0xbe750f2a, v158
	v_add_f32_e32 v65, v214, v127
	v_fmac_f32_e32 v216, 0x3f116cb1, v51
	v_add_f32_e32 v61, v64, v61
	v_fma_f32 v64, 0xbeb58ec6, v52, -v212
	v_add_f32_e32 v58, v125, v58
	v_fma_f32 v125, 0x3f62ad3f, v54, -v202
	v_add_f32_e32 v127, v40, v195
	v_fmac_f32_e32 v206, 0xbf3f9e67, v47
	v_mul_f32_e32 v180, 0xbeb58ec6, v56
	v_mul_f32_e32 v161, 0x3f29c268, v161
	v_add_f32_e32 v144, v152, v145
	v_add_f32_e32 v145, v150, v178
	;; [unrolled: 1-line block ×3, first 2 shown]
	v_fmac_f32_e32 v156, 0xbeb58ec6, v47
	v_add_f32_e32 v41, v50, v41
	v_fma_f32 v50, 0xbf788fa5, v54, -v159
	v_add_f32_e32 v196, v198, v196
	v_fmamk_f32 v198, v56, 0x3df6dbef, v200
	v_mul_f32_e32 v217, 0x3e750f2a, v163
	v_add_f32_e32 v155, v188, v155
	v_fmamk_f32 v188, v54, 0xbf788fa5, v159
	v_add_f32_e32 v185, v190, v185
	v_fma_f32 v190, 0xbf788fa5, v48, -v158
	v_mul_f32_e32 v160, 0x3f29c268, v160
	v_add_f32_e32 v65, v216, v65
	v_fmac_f32_e32 v207, 0xbeb58ec6, v49
	v_add_f32_e32 v61, v64, v61
	v_fma_f32 v64, 0x3df6dbef, v55, -v215
	v_add_f32_e32 v58, v125, v58
	v_add_f32_e32 v125, v206, v127
	v_fmac_f32_e32 v219, 0x3f62ad3f, v48
	v_mul_f32_e32 v183, 0xbf3f9e67, v52
	v_add_f32_e32 v143, v145, v144
	v_add_f32_e32 v136, v146, v180
	;; [unrolled: 1-line block ×3, first 2 shown]
	v_fmac_f32_e32 v158, 0xbf788fa5, v48
	v_add_f32_e32 v41, v50, v41
	v_fma_f32 v48, 0xbf3f9e67, v56, -v161
	v_add_f32_e32 v196, v198, v196
	v_fmamk_f32 v198, v52, 0xbf788fa5, v217
	v_add_f32_e32 v155, v188, v155
	v_fmamk_f32 v188, v56, 0xbf3f9e67, v161
	v_mul_f32_e32 v163, 0x3f7e222b, v163
	v_add_f32_e32 v185, v190, v185
	v_fma_f32 v190, 0xbf3f9e67, v51, -v160
	v_mul_f32_e32 v162, 0x3f7e222b, v162
	v_add_f32_e32 v126, v207, v65
	v_add_f32_e32 v65, v64, v61
	v_fma_f32 v61, 0x3df6dbef, v56, -v200
	v_add_f32_e32 v46, v219, v125
	v_fmac_f32_e32 v218, 0x3df6dbef, v51
	v_mul_f32_e32 v187, 0xbf788fa5, v55
	v_add_f32_e32 v135, v136, v143
	v_add_f32_e32 v136, v148, v183
	;; [unrolled: 1-line block ×3, first 2 shown]
	v_fmac_f32_e32 v160, 0xbf3f9e67, v51
	v_add_f32_e32 v41, v48, v41
	v_mov_b32_e32 v48, 0x9c
	v_add_f32_e32 v196, v198, v196
	v_mul_f32_e32 v198, 0x3f52af12, v165
	v_add_f32_e32 v155, v188, v155
	v_fmamk_f32 v188, v52, 0x3df6dbef, v163
	v_mul_f32_e32 v191, 0x3eedf032, v165
	v_add_f32_e32 v165, v190, v185
	v_fma_f32 v185, 0x3df6dbef, v49, -v162
	v_mul_f32_e32 v164, 0x3eedf032, v164
	v_add_f32_e32 v58, v61, v58
	v_fma_f32 v61, 0xbf788fa5, v52, -v217
	v_add_f32_e32 v46, v218, v46
	v_fmac_f32_e32 v221, 0xbf788fa5, v49
	v_add_f32_e32 v134, v136, v135
	v_add_f32_e32 v135, v151, v187
	v_fma_f32 v51, 0x3df6dbef, v52, -v163
	v_add_f32_e32 v40, v160, v40
	v_fmac_f32_e32 v162, 0x3df6dbef, v49
	v_mul_u32_u24_sdwa v48, v110, v48 dst_sel:DWORD dst_unused:UNUSED_PAD src0_sel:WORD_0 src1_sel:DWORD
	v_fma_f32 v190, 0xbf3f9e67, v53, -v194
	v_add_f32_e32 v155, v188, v155
	v_fmamk_f32 v188, v55, 0x3f62ad3f, v191
	v_add_f32_e32 v185, v185, v165
	v_fma_f32 v192, 0x3f62ad3f, v53, -v164
	v_fmamk_f32 v220, v55, 0x3f116cb1, v198
	v_fmac_f32_e32 v213, 0x3df6dbef, v53
	v_add_f32_e32 v47, v61, v58
	v_fma_f32 v50, 0x3f116cb1, v55, -v198
	v_add_f32_e32 v46, v221, v46
	v_fmac_f32_e32 v204, 0x3f116cb1, v53
	v_add_f32_e32 v63, v135, v134
	v_add_f32_e32 v49, v51, v41
	v_fma_f32 v51, 0x3f62ad3f, v55, -v191
	v_add_f32_e32 v52, v162, v40
	v_fmac_f32_e32 v164, 0x3f62ad3f, v53
	v_add_lshl_u32 v48, v48, v109, 3
	v_add_f32_e32 v165, v190, v182
	v_add_f32_e32 v155, v188, v155
	;; [unrolled: 1-line block ×9, first 2 shown]
	ds_write2_b64 v48, v[59:60], v[62:63] offset1:12
	ds_write2_b64 v48, v[154:155], v[165:166] offset0:24 offset1:36
	ds_write2_b64 v48, v[171:172], v[169:170] offset0:48 offset1:60
	ds_write2_b64 v48, v[167:168], v[64:65] offset0:72 offset1:84
	ds_write2_b64 v48, v[44:45], v[40:41] offset0:96 offset1:108
	ds_write2_b64 v48, v[42:43], v[46:47] offset0:120 offset1:132
	ds_write_b64 v48, v[105:106] offset:1152
.LBB0_5:
	s_or_b32 exec_lo, exec_lo, s0
	v_add_co_u32 v44, s0, 0xffffffd9, v107
	v_add_co_ci_u32_e64 v45, null, 0, -1, s0
	v_lshrrev_b16 v46, 2, v66
	v_mov_b32_e32 v47, 0xd21
	v_cmp_gt_u16_e64 s0, 39, v107
	s_waitcnt lgkmcnt(0)
	s_barrier
	buffer_gl0_inv
	global_load_dwordx4 v[40:43], v70, s[14:15] offset:1232
	v_cndmask_b32_e64 v126, v45, v69, s0
	v_mul_u32_u24_sdwa v45, v46, v47 dst_sel:DWORD dst_unused:UNUSED_PAD src0_sel:WORD_0 src1_sel:DWORD
	v_lshrrev_b16 v46, 2, v67
	v_cndmask_b32_e64 v125, v44, v68, s0
	v_add_nc_u32_e32 v130, 0xc00, v108
	v_add_nc_u32_e32 v134, 0x1c00, v108
	v_lshrrev_b32_e32 v127, 17, v45
	v_mul_u32_u24_sdwa v46, v46, v47 dst_sel:DWORD dst_unused:UNUSED_PAD src0_sel:WORD_0 src1_sel:DWORD
	v_lshlrev_b64 v[44:45], 4, v[125:126]
	v_add_nc_u32_e32 v131, 0x400, v108
	v_add_nc_u32_e32 v133, 0x1400, v108
	v_mul_lo_u16 v47, 0x9c, v127
	v_lshrrev_b32_e32 v46, 17, v46
	v_add_nc_u32_e32 v132, 0x2400, v108
	v_add_co_u32 v44, s0, s14, v44
	v_add_co_ci_u32_e64 v45, s0, s15, v45, s0
	v_mul_lo_u16 v46, 0x9c, v46
	v_sub_nc_u16 v145, v66, v47
	v_lshlrev_b32_e32 v149, 3, v71
	global_load_dwordx4 v[52:55], v[44:45], off offset:1232
	v_lshlrev_b32_e32 v150, 4, v66
	v_sub_nc_u16 v146, v67, v46
	v_lshlrev_b16 v44, 4, v145
	v_mov_b32_e32 v148, 3
	v_mad_u16 v127, 0x1d4, v127, v145
	v_add_nc_u32_e32 v184, 0x800, v108
	v_lshlrev_b16 v45, 4, v146
	v_and_b32_e32 v44, 0xffff, v44
	v_lshlrev_b32_sdwa v127, v148, v127 dst_sel:DWORD dst_unused:UNUSED_PAD src0_sel:DWORD src1_sel:WORD_0
	v_and_b32_e32 v46, 0xffff, v45
	v_add_co_u32 v44, s0, s14, v44
	v_add_co_ci_u32_e64 v45, null, s15, 0, s0
	v_add_co_u32 v46, s0, s14, v46
	v_add_co_ci_u32_e64 v47, null, s15, 0, s0
	s_clause 0x1
	global_load_dwordx4 v[48:51], v[44:45], off offset:1232
	global_load_dwordx4 v[44:47], v[46:47], off offset:1232
	ds_read2_b64 v[56:59], v108 offset1:117
	v_add_co_u32 v126, s0, s14, v70
	ds_read2_b64 v[60:63], v130 offset0:84 offset1:201
	ds_read2_b64 v[64:67], v134 offset0:40 offset1:157
	;; [unrolled: 1-line block ×5, first 2 shown]
	v_add_co_ci_u32_e64 v144, null, s15, 0, s0
	v_cmp_lt_u16_e64 s0, 38, v107
	s_waitcnt vmcnt(0) lgkmcnt(0)
	s_barrier
	buffer_gl0_inv
	v_cndmask_b32_e64 v147, 0, 0x1d4, s0
	v_add_co_u32 v151, s0, s14, v114
	v_add_co_ci_u32_e64 v152, null, s15, 0, s0
	v_add_co_u32 v143, s0, 0x800, v126
	v_add_co_ci_u32_e64 v144, s0, 0, v144, s0
	v_add_co_u32 v149, s0, s14, v149
	v_add_co_ci_u32_e64 v153, null, s15, 0, s0
	v_add_co_u32 v150, s0, s14, v150
	v_add_co_ci_u32_e64 v154, null, s15, 0, s0
	v_add_lshl_u32 v126, v125, v147, 3
	v_lshlrev_b32_sdwa v125, v148, v146 dst_sel:DWORD dst_unused:UNUSED_PAD src0_sel:DWORD src1_sel:WORD_0
	v_add_co_u32 v145, s0, 0x800, v149
	v_add_co_ci_u32_e64 v146, s0, 0, v153, s0
	v_add_nc_u32_e32 v147, 0x1c00, v125
	v_mul_f32_e32 v148, v61, v41
	v_mul_f32_e32 v149, v65, v43
	;; [unrolled: 1-line block ×4, first 2 shown]
	v_fma_f32 v60, v60, v40, -v148
	v_fma_f32 v64, v64, v42, -v149
	v_fmac_f32_e32 v153, v61, v40
	v_fmac_f32_e32 v155, v65, v42
	v_add_f32_e32 v65, v56, v60
	v_add_f32_e32 v61, v60, v64
	v_sub_f32_e32 v156, v60, v64
	v_add_f32_e32 v148, v153, v155
	v_sub_f32_e32 v149, v153, v155
	v_add_f32_e32 v153, v57, v153
	v_fma_f32 v56, -0.5, v61, v56
	v_add_f32_e32 v60, v65, v64
	v_fma_f32 v57, -0.5, v148, v57
	v_add_f32_e32 v61, v153, v155
	v_fmamk_f32 v64, v149, 0x3f5db3d7, v56
	v_fmac_f32_e32 v56, 0xbf5db3d7, v149
	v_mul_f32_e32 v148, v63, v53
	v_mul_f32_e32 v149, v62, v53
	;; [unrolled: 1-line block ×4, first 2 shown]
	v_fmamk_f32 v65, v156, 0xbf5db3d7, v57
	v_fma_f32 v62, v62, v52, -v148
	v_fmac_f32_e32 v149, v63, v52
	v_fma_f32 v63, v66, v54, -v153
	v_fmac_f32_e32 v155, v67, v54
	v_fmac_f32_e32 v57, 0x3f5db3d7, v156
	ds_write2_b64 v108, v[60:61], v[64:65] offset1:156
	ds_write_b64 v108, v[56:57] offset:2496
	v_add_f32_e32 v56, v58, v62
	v_add_f32_e32 v57, v62, v63
	;; [unrolled: 1-line block ×3, first 2 shown]
	v_sub_f32_e32 v61, v149, v155
	v_add_f32_e32 v60, v59, v149
	v_sub_f32_e32 v62, v62, v63
	v_add_f32_e32 v56, v56, v63
	v_fma_f32 v58, -0.5, v57, v58
	v_fmac_f32_e32 v59, -0.5, v64
	v_mul_f32_e32 v63, v136, v49
	v_mul_f32_e32 v64, v135, v49
	;; [unrolled: 1-line block ×8, first 2 shown]
	v_add_f32_e32 v57, v60, v155
	v_fmamk_f32 v60, v61, 0x3f5db3d7, v58
	v_fmac_f32_e32 v58, 0xbf5db3d7, v61
	v_fmamk_f32 v61, v62, 0xbf5db3d7, v59
	v_fmac_f32_e32 v59, 0x3f5db3d7, v62
	v_fma_f32 v62, v135, v48, -v63
	v_fmac_f32_e32 v64, v136, v48
	v_fma_f32 v63, v139, v50, -v65
	v_fmac_f32_e32 v66, v140, v50
	v_fma_f32 v65, v137, v44, -v67
	v_fmac_f32_e32 v148, v138, v44
	v_fma_f32 v67, v141, v46, -v149
	v_fmac_f32_e32 v153, v142, v46
	ds_write2_b64 v126, v[56:57], v[60:61] offset1:156
	v_add_f32_e32 v57, v62, v63
	v_sub_f32_e32 v135, v64, v66
	v_add_f32_e32 v61, v69, v64
	v_add_f32_e32 v64, v64, v66
	;; [unrolled: 1-line block ×5, first 2 shown]
	v_sub_f32_e32 v136, v62, v63
	v_fma_f32 v60, -0.5, v57, v68
	v_add_f32_e32 v57, v61, v66
	v_fma_f32 v61, -0.5, v64, v69
	v_add_f32_e32 v62, v70, v65
	v_sub_f32_e32 v138, v148, v153
	v_add_f32_e32 v139, v71, v148
	v_sub_f32_e32 v141, v65, v67
	v_fma_f32 v70, -0.5, v137, v70
	v_fmac_f32_e32 v71, -0.5, v140
	v_add_f32_e32 v56, v56, v63
	v_fmamk_f32 v64, v135, 0x3f5db3d7, v60
	v_fmamk_f32 v65, v136, 0xbf5db3d7, v61
	v_fmac_f32_e32 v60, 0xbf5db3d7, v135
	v_fmac_f32_e32 v61, 0x3f5db3d7, v136
	v_add_f32_e32 v62, v62, v67
	v_add_f32_e32 v63, v139, v153
	v_fmamk_f32 v66, v138, 0x3f5db3d7, v70
	v_fmamk_f32 v67, v141, 0xbf5db3d7, v71
	v_fmac_f32_e32 v70, 0xbf5db3d7, v138
	v_fmac_f32_e32 v71, 0x3f5db3d7, v141
	ds_write_b64 v126, v[58:59] offset:2496
	ds_write2_b64 v127, v[56:57], v[64:65] offset1:156
	ds_write_b64 v127, v[60:61] offset:2496
	ds_write2_b64 v147, v[62:63], v[66:67] offset0:40 offset1:196
	ds_write_b64 v125, v[70:71] offset:9984
	v_add_co_u32 v56, s0, 0x800, v150
	v_add_co_ci_u32_e64 v57, s0, 0, v154, s0
	v_add_co_u32 v58, s0, 0x800, v151
	s_waitcnt lgkmcnt(0)
	s_barrier
	buffer_gl0_inv
	s_clause 0x1
	global_load_dwordx4 v[68:71], v[143:144], off offset:1680
	global_load_dwordx4 v[64:67], v[145:146], off offset:1680
	v_add_co_ci_u32_e64 v59, s0, 0, v152, s0
	s_clause 0x1
	global_load_dwordx4 v[60:63], v[56:57], off offset:1680
	global_load_dwordx4 v[56:59], v[58:59], off offset:1680
	ds_read2_b64 v[136:139], v130 offset0:84 offset1:201
	ds_read2_b64 v[140:143], v134 offset0:40 offset1:157
	;; [unrolled: 1-line block ×4, first 2 shown]
	ds_read2_b64 v[152:155], v108 offset1:117
	ds_read2_b64 v[156:159], v131 offset0:106 offset1:223
	v_lshlrev_b32_e32 v135, 3, v107
	v_add_co_u32 v172, s0, s12, v135
	v_add_co_ci_u32_e64 v173, null, s13, 0, s0
	v_add_nc_u32_e32 v135, 0x1000, v108
	v_add_co_u32 v160, s0, 0x2800, v172
	v_add_co_ci_u32_e64 v161, s0, 0, v173, s0
	s_waitcnt vmcnt(3) lgkmcnt(5)
	v_mul_f32_e32 v162, v137, v69
	v_mul_f32_e32 v163, v136, v69
	s_waitcnt lgkmcnt(4)
	v_mul_f32_e32 v164, v141, v71
	v_mul_f32_e32 v165, v140, v71
	s_waitcnt vmcnt(2)
	v_mul_f32_e32 v166, v139, v65
	v_mul_f32_e32 v167, v138, v65
	v_mul_f32_e32 v168, v143, v67
	v_mul_f32_e32 v169, v142, v67
	s_waitcnt vmcnt(1) lgkmcnt(3)
	v_mul_f32_e32 v170, v145, v61
	v_mul_f32_e32 v171, v144, v61
	s_waitcnt lgkmcnt(2)
	v_mul_f32_e32 v174, v149, v63
	v_mul_f32_e32 v175, v148, v63
	s_waitcnt vmcnt(0)
	v_mul_f32_e32 v176, v147, v57
	v_mul_f32_e32 v177, v146, v57
	;; [unrolled: 1-line block ×4, first 2 shown]
	v_fma_f32 v136, v136, v68, -v162
	v_fmac_f32_e32 v163, v137, v68
	v_fma_f32 v137, v140, v70, -v164
	v_fmac_f32_e32 v165, v141, v70
	v_fma_f32 v138, v138, v64, -v166
	v_fmac_f32_e32 v167, v139, v64
	v_fma_f32 v140, v142, v66, -v168
	v_fmac_f32_e32 v169, v143, v66
	v_fma_f32 v139, v144, v60, -v170
	v_fmac_f32_e32 v171, v145, v60
	v_fma_f32 v142, v148, v62, -v174
	v_fmac_f32_e32 v175, v149, v62
	v_fma_f32 v141, v146, v56, -v176
	v_fmac_f32_e32 v177, v147, v56
	v_fma_f32 v146, v150, v58, -v178
	v_fmac_f32_e32 v179, v151, v58
	v_add_f32_e32 v144, v136, v137
	v_add_f32_e32 v147, v163, v165
	;; [unrolled: 1-line block ×4, first 2 shown]
	s_waitcnt lgkmcnt(1)
	v_add_f32_e32 v143, v152, v136
	v_add_f32_e32 v145, v153, v163
	;; [unrolled: 1-line block ×3, first 2 shown]
	v_sub_f32_e32 v170, v171, v175
	s_waitcnt lgkmcnt(0)
	v_add_f32_e32 v174, v157, v171
	v_add_f32_e32 v171, v171, v175
	v_sub_f32_e32 v149, v163, v165
	v_sub_f32_e32 v150, v136, v137
	v_add_f32_e32 v148, v154, v138
	v_sub_f32_e32 v162, v167, v169
	v_add_f32_e32 v163, v155, v167
	;; [unrolled: 2-line block ×5, first 2 shown]
	v_add_f32_e32 v177, v177, v179
	v_fma_f32 v138, -0.5, v144, v152
	v_fma_f32 v139, -0.5, v147, v153
	;; [unrolled: 1-line block ×3, first 2 shown]
	v_fmac_f32_e32 v155, -0.5, v164
	v_add_f32_e32 v136, v143, v137
	v_add_f32_e32 v137, v145, v165
	v_fma_f32 v144, -0.5, v168, v156
	v_fma_f32 v145, -0.5, v171, v157
	v_add_f32_e32 v178, v158, v141
	v_sub_f32_e32 v183, v141, v146
	v_add_f32_e32 v140, v148, v140
	v_fma_f32 v158, -0.5, v180, v158
	v_fmac_f32_e32 v159, -0.5, v177
	v_fmamk_f32 v148, v149, 0x3f5db3d7, v138
	v_fmac_f32_e32 v138, 0xbf5db3d7, v149
	v_fmamk_f32 v149, v150, 0xbf5db3d7, v139
	v_fmac_f32_e32 v139, 0x3f5db3d7, v150
	v_add_f32_e32 v141, v163, v169
	v_fmamk_f32 v150, v162, 0x3f5db3d7, v154
	v_fmac_f32_e32 v154, 0xbf5db3d7, v162
	v_fmamk_f32 v151, v166, 0xbf5db3d7, v155
	v_fmac_f32_e32 v155, 0x3f5db3d7, v166
	v_fmamk_f32 v152, v170, 0x3f5db3d7, v144
	v_fmamk_f32 v153, v176, 0xbf5db3d7, v145
	v_add_f32_e32 v142, v167, v142
	v_add_f32_e32 v143, v174, v175
	;; [unrolled: 1-line block ×4, first 2 shown]
	v_fmac_f32_e32 v144, 0xbf5db3d7, v170
	v_fmac_f32_e32 v145, 0x3f5db3d7, v176
	v_fmamk_f32 v156, v181, 0x3f5db3d7, v158
	v_fmac_f32_e32 v158, 0xbf5db3d7, v181
	v_fmamk_f32 v157, v183, 0xbf5db3d7, v159
	v_fmac_f32_e32 v159, 0x3f5db3d7, v183
	ds_write_b64 v108, v[148:149] offset:3744
	ds_write_b64 v108, v[138:139] offset:7488
	ds_write2_b64 v108, v[136:137], v[140:141] offset1:117
	ds_write_b64 v108, v[154:155] offset:8424
	ds_write2_b64 v135, v[150:151], v[152:153] offset0:73 offset1:190
	ds_write2_b64 v131, v[142:143], v[146:147] offset0:106 offset1:223
	ds_write_b64 v108, v[156:157] offset:6552
	ds_write2_b64 v132, v[144:145], v[158:159] offset0:18 offset1:135
	s_waitcnt lgkmcnt(0)
	s_barrier
	buffer_gl0_inv
	global_load_dwordx2 v[140:141], v[160:161], off offset:992
	v_add_co_u32 v136, s0, 0x2be0, v172
	v_add_co_ci_u32_e64 v137, s0, 0, v173, s0
	v_add_co_u32 v138, s0, 0x4000, v172
	v_add_co_ci_u32_e64 v139, s0, 0, v173, s0
	;; [unrolled: 2-line block ×3, first 2 shown]
	v_add_co_u32 v144, s0, 0x3000, v172
	s_clause 0x1
	global_load_dwordx2 v[160:161], v[136:137], off offset:936
	global_load_dwordx2 v[162:163], v[138:139], off offset:464
	v_add_co_ci_u32_e64 v145, s0, 0, v173, s0
	v_add_co_u32 v146, s0, 0x3800, v172
	v_add_co_ci_u32_e64 v147, s0, 0, v173, s0
	s_clause 0x3
	global_load_dwordx2 v[164:165], v[138:139], off offset:1400
	global_load_dwordx2 v[166:167], v[136:137], off offset:1872
	;; [unrolled: 1-line block ×4, first 2 shown]
	v_add_co_u32 v136, s0, 0x5000, v172
	v_add_co_ci_u32_e64 v137, s0, 0, v173, s0
	s_clause 0x4
	global_load_dwordx2 v[172:173], v[142:143], off offset:1224
	global_load_dwordx2 v[174:175], v[146:147], off offset:640
	;; [unrolled: 1-line block ×5, first 2 shown]
	ds_read2_b64 v[136:139], v108 offset1:117
	s_waitcnt vmcnt(11) lgkmcnt(0)
	v_mul_f32_e32 v143, v137, v141
	v_mul_f32_e32 v142, v136, v141
	v_fma_f32 v141, v136, v140, -v143
	v_fmac_f32_e32 v142, v137, v140
	v_add_nc_u32_e32 v137, 0x1800, v108
	v_add_nc_u32_e32 v136, 0x2000, v108
	ds_write_b64 v108, v[141:142]
	ds_read2_b64 v[140:143], v133 offset0:62 offset1:179
	ds_read2_b64 v[144:147], v131 offset0:106 offset1:223
	;; [unrolled: 1-line block ×5, first 2 shown]
	s_waitcnt vmcnt(10)
	v_mul_f32_e32 v182, v139, v161
	v_mul_f32_e32 v183, v138, v161
	v_fma_f32 v182, v138, v160, -v182
	v_fmac_f32_e32 v183, v139, v160
	s_waitcnt vmcnt(9) lgkmcnt(4)
	v_mul_f32_e32 v138, v141, v163
	v_mul_f32_e32 v139, v140, v163
	s_waitcnt vmcnt(7) lgkmcnt(3)
	v_mul_f32_e32 v185, v145, v167
	v_mul_f32_e32 v163, v144, v167
	;; [unrolled: 1-line block ×4, first 2 shown]
	s_waitcnt vmcnt(6) lgkmcnt(2)
	v_mul_f32_e32 v186, v149, v169
	v_mul_f32_e32 v165, v148, v169
	s_waitcnt vmcnt(5)
	v_mul_f32_e32 v187, v147, v171
	v_mul_f32_e32 v167, v146, v171
	s_waitcnt vmcnt(3) lgkmcnt(1)
	v_mul_f32_e32 v189, v153, v175
	v_mul_f32_e32 v171, v152, v175
	;; [unrolled: 1-line block ×4, first 2 shown]
	s_waitcnt vmcnt(2) lgkmcnt(0)
	v_mul_f32_e32 v190, v157, v177
	v_mul_f32_e32 v173, v156, v177
	s_waitcnt vmcnt(0)
	v_mul_f32_e32 v191, v155, v181
	v_mul_f32_e32 v175, v154, v181
	;; [unrolled: 1-line block ×4, first 2 shown]
	v_fma_f32 v138, v140, v162, -v138
	v_fmac_f32_e32 v139, v141, v162
	v_fma_f32 v162, v144, v166, -v185
	v_fmac_f32_e32 v163, v145, v166
	;; [unrolled: 2-line block ×10, first 2 shown]
	ds_write2_b64 v108, v[182:183], v[162:163] offset0:117 offset1:234
	ds_write2_b64 v137, v[160:161], v[164:165] offset0:51 offset1:168
	;; [unrolled: 1-line block ×5, first 2 shown]
	ds_write_b64 v108, v[176:177] offset:10296
	s_waitcnt lgkmcnt(0)
	s_barrier
	buffer_gl0_inv
	ds_read2_b64 v[138:141], v108 offset1:117
	ds_read2_b64 v[142:145], v133 offset0:62 offset1:179
	ds_read2_b64 v[146:149], v131 offset0:106 offset1:223
	;; [unrolled: 1-line block ×5, first 2 shown]
	s_waitcnt lgkmcnt(0)
	s_barrier
	buffer_gl0_inv
	v_sub_f32_e32 v162, v138, v142
	v_sub_f32_e32 v163, v139, v143
	;; [unrolled: 1-line block ×12, first 2 shown]
	v_fma_f32 v160, v138, 2.0, -v162
	v_fma_f32 v161, v139, 2.0, -v163
	;; [unrolled: 1-line block ×12, first 2 shown]
	ds_write_b128 v78, v[160:163]
	ds_write_b128 v113, v[140:143]
	;; [unrolled: 1-line block ×6, first 2 shown]
	s_waitcnt lgkmcnt(0)
	s_barrier
	buffer_gl0_inv
	ds_read2_b64 v[138:141], v133 offset0:62 offset1:179
	ds_read2_b64 v[142:145], v134 offset0:40 offset1:157
	ds_read2_b64 v[146:149], v132 offset0:18 offset1:135
	ds_read2_b64 v[150:153], v108 offset1:117
	ds_read2_b64 v[154:157], v131 offset0:106 offset1:223
	ds_read2_b64 v[158:161], v130 offset0:84 offset1:201
	s_waitcnt lgkmcnt(0)
	s_barrier
	buffer_gl0_inv
	v_mul_f32_e32 v78, v73, v139
	v_mul_f32_e32 v112, v73, v138
	;; [unrolled: 1-line block ×12, first 2 shown]
	v_fmac_f32_e32 v78, v72, v138
	v_fma_f32 v112, v72, v139, -v112
	v_fmac_f32_e32 v113, v79, v140
	v_fma_f32 v75, v79, v141, -v75
	;; [unrolled: 2-line block ×6, first 2 shown]
	v_sub_f32_e32 v72, v150, v78
	v_sub_f32_e32 v73, v151, v112
	;; [unrolled: 1-line block ×12, first 2 shown]
	v_fma_f32 v128, v150, 2.0, -v72
	v_fma_f32 v129, v151, 2.0, -v73
	;; [unrolled: 1-line block ×12, first 2 shown]
	ds_write2_b64 v118, v[128:129], v[72:73] offset1:2
	ds_write2_b64 v120, v[138:139], v[74:75] offset1:2
	ds_write2_b64 v119, v[140:141], v[76:77] offset1:2
	ds_write2_b64 v117, v[142:143], v[78:79] offset1:2
	ds_write2_b64 v116, v[144:145], v[111:112] offset1:2
	ds_write2_b64 v115, v[146:147], v[113:114] offset1:2
	s_waitcnt lgkmcnt(0)
	s_barrier
	buffer_gl0_inv
	ds_read2_b64 v[111:114], v130 offset0:84 offset1:201
	ds_read2_b64 v[115:118], v134 offset0:40 offset1:157
	;; [unrolled: 1-line block ×4, first 2 shown]
	ds_read2_b64 v[72:75], v108 offset1:117
	ds_read2_b64 v[76:79], v131 offset0:106 offset1:223
	s_waitcnt lgkmcnt(0)
	s_barrier
	buffer_gl0_inv
	v_mul_f32_e32 v119, v13, v112
	v_mul_f32_e32 v13, v13, v111
	v_mul_f32_e32 v120, v15, v116
	v_mul_f32_e32 v15, v15, v115
	v_mul_f32_e32 v128, v9, v114
	v_mul_f32_e32 v9, v9, v113
	v_mul_f32_e32 v129, v11, v118
	v_mul_f32_e32 v11, v11, v117
	v_mul_f32_e32 v132, v5, v139
	v_mul_f32_e32 v5, v5, v138
	v_mul_f32_e32 v133, v7, v143
	v_mul_f32_e32 v7, v7, v142
	v_mul_f32_e32 v134, v1, v141
	v_mul_f32_e32 v1, v1, v140
	v_mul_f32_e32 v146, v3, v145
	v_mul_f32_e32 v3, v3, v144
	v_fmac_f32_e32 v119, v12, v111
	v_fma_f32 v12, v12, v112, -v13
	v_fmac_f32_e32 v120, v14, v115
	v_fma_f32 v13, v14, v116, -v15
	;; [unrolled: 2-line block ×8, first 2 shown]
	v_add_f32_e32 v1, v72, v119
	v_add_f32_e32 v3, v119, v120
	;; [unrolled: 1-line block ×4, first 2 shown]
	v_sub_f32_e32 v111, v119, v120
	v_add_f32_e32 v15, v128, v129
	v_sub_f32_e32 v112, v8, v9
	v_add_f32_e32 v113, v75, v8
	v_add_f32_e32 v8, v8, v9
	;; [unrolled: 1-line block ×6, first 2 shown]
	v_sub_f32_e32 v6, v12, v13
	v_add_f32_e32 v11, v74, v128
	v_sub_f32_e32 v114, v128, v129
	v_add_f32_e32 v115, v76, v132
	;; [unrolled: 2-line block ×6, first 2 shown]
	v_fma_f32 v12, -0.5, v3, v72
	v_add_f32_e32 v1, v7, v13
	v_fma_f32 v13, -0.5, v10, v73
	v_fma_f32 v74, -0.5, v15, v74
	v_add_f32_e32 v15, v113, v9
	v_fmac_f32_e32 v75, -0.5, v8
	v_fma_f32 v8, -0.5, v116, v76
	v_fma_f32 v9, -0.5, v119, v77
	;; [unrolled: 1-line block ×3, first 2 shown]
	v_fmac_f32_e32 v79, -0.5, v141
	v_add_f32_e32 v14, v11, v129
	v_add_f32_e32 v4, v115, v133
	;; [unrolled: 1-line block ×5, first 2 shown]
	v_fmamk_f32 v2, v6, 0xbf5db3d7, v12
	v_fmac_f32_e32 v12, 0x3f5db3d7, v6
	v_fmamk_f32 v3, v111, 0x3f5db3d7, v13
	v_fmac_f32_e32 v13, 0xbf5db3d7, v111
	;; [unrolled: 2-line block ×8, first 2 shown]
	ds_write2_b64 v124, v[0:1], v[2:3] offset1:4
	ds_write_b64 v124, v[12:13] offset:64
	ds_write2_b64 v123, v[14:15], v[72:73] offset1:4
	ds_write_b64 v123, v[74:75] offset:64
	;; [unrolled: 2-line block ×4, first 2 shown]
	s_waitcnt lgkmcnt(0)
	s_barrier
	buffer_gl0_inv
	s_and_saveexec_b32 s0, vcc_lo
	s_cbranch_execz .LBB0_7
; %bb.6:
	ds_read2_b64 v[0:3], v108 offset1:108
	ds_read2_b64 v[12:15], v131 offset0:88 offset1:196
	ds_read2_b64 v[72:75], v130 offset0:48 offset1:156
	ds_read2_b64 v[4:7], v135 offset0:136 offset1:244
	ds_read2_b64 v[8:11], v137 offset0:96 offset1:204
	ds_read2_b64 v[76:79], v136 offset0:56 offset1:164
	ds_read_b64 v[105:106], v108 offset:10368
.LBB0_7:
	s_or_b32 exec_lo, exec_lo, s0
	s_waitcnt lgkmcnt(0)
	s_barrier
	buffer_gl0_inv
	s_and_saveexec_b32 s0, vcc_lo
	s_cbranch_execz .LBB0_9
; %bb.8:
	v_mul_f32_e32 v112, v29, v3
	v_mul_f32_e32 v111, v39, v106
	;; [unrolled: 1-line block ×5, first 2 shown]
	v_fmac_f32_e32 v112, v28, v2
	v_fmac_f32_e32 v111, v38, v105
	v_mul_f32_e32 v29, v37, v79
	v_fma_f32 v38, v38, v106, -v113
	v_fma_f32 v105, v28, v3, -v114
	v_mul_f32_e32 v2, v37, v78
	v_sub_f32_e32 v28, v112, v111
	v_fmac_f32_e32 v39, v30, v12
	v_fmac_f32_e32 v29, v36, v78
	v_mul_f32_e32 v3, v31, v12
	v_mul_f32_e32 v37, v25, v15
	;; [unrolled: 1-line block ×3, first 2 shown]
	v_add_f32_e32 v106, v38, v105
	v_mul_f32_e32 v113, 0xbf7e222b, v28
	v_sub_f32_e32 v12, v39, v29
	v_fma_f32 v36, v36, v79, -v2
	v_fma_f32 v78, v30, v13, -v3
	v_fmac_f32_e32 v37, v24, v14
	v_fmac_f32_e32 v31, v34, v76
	v_mul_f32_e32 v2, v35, v76
	v_mul_f32_e32 v3, v25, v14
	v_fmamk_f32 v114, v106, 0x3df6dbef, v113
	v_mul_f32_e32 v76, 0xbe750f2a, v12
	v_add_f32_e32 v79, v36, v78
	v_sub_f32_e32 v13, v37, v31
	v_fma_f32 v25, v34, v77, -v2
	v_fma_f32 v35, v24, v15, -v3
	v_add_f32_e32 v2, v1, v114
	v_fmamk_f32 v3, v79, 0xbf788fa5, v76
	v_mul_f32_e32 v77, 0x3f6f5d39, v13
	v_mul_f32_e32 v34, v27, v73
	v_add_f32_e32 v114, v25, v35
	v_mul_f32_e32 v24, v33, v11
	v_add_f32_e32 v2, v3, v2
	v_mul_f32_e32 v14, v27, v72
	v_fmac_f32_e32 v34, v26, v72
	v_fmamk_f32 v3, v114, 0xbeb58ec6, v77
	v_fmac_f32_e32 v24, v32, v10
	v_mul_f32_e32 v115, v17, v75
	v_mul_f32_e32 v27, v23, v9
	v_fma_f32 v26, v26, v73, -v14
	v_add_f32_e32 v2, v3, v2
	v_mul_f32_e32 v3, v33, v10
	v_sub_f32_e32 v10, v34, v24
	v_fmac_f32_e32 v115, v16, v74
	v_fmac_f32_e32 v27, v22, v8
	v_sub_f32_e32 v119, v105, v38
	v_fma_f32 v30, v32, v11, -v3
	v_mul_f32_e32 v3, v23, v8
	v_mul_f32_e32 v11, v17, v74
	;; [unrolled: 1-line block ×3, first 2 shown]
	v_sub_f32_e32 v8, v115, v27
	v_add_f32_e32 v72, v30, v26
	v_fma_f32 v74, v22, v9, -v3
	v_fma_f32 v75, v16, v75, -v11
	v_add_f32_e32 v11, v111, v112
	v_mul_f32_e32 v32, 0xbf52af12, v8
	v_fmamk_f32 v3, v72, 0x3f62ad3f, v23
	v_mul_f32_e32 v33, 0xbf7e222b, v119
	v_add_f32_e32 v118, v74, v75
	v_sub_f32_e32 v120, v78, v36
	v_mul_f32_e32 v116, v19, v5
	v_add_f32_e32 v2, v3, v2
	v_mul_f32_e32 v117, v21, v7
	v_fmamk_f32 v3, v118, 0x3f116cb1, v32
	v_add_f32_e32 v14, v29, v39
	v_mul_f32_e32 v121, 0xbe750f2a, v120
	v_sub_f32_e32 v122, v35, v25
	v_fmac_f32_e32 v116, v18, v4
	v_add_f32_e32 v2, v3, v2
	v_fma_f32 v3, 0x3df6dbef, v11, -v33
	v_fmac_f32_e32 v117, v20, v6
	v_mul_f32_e32 v6, v21, v6
	v_mul_f32_e32 v4, v19, v4
	v_fma_f32 v16, 0xbf788fa5, v14, -v121
	v_add_f32_e32 v3, v0, v3
	v_add_f32_e32 v15, v31, v37
	v_mul_f32_e32 v123, 0x3f6f5d39, v122
	v_sub_f32_e32 v128, v26, v30
	v_sub_f32_e32 v9, v116, v117
	v_fma_f32 v124, v20, v7, -v6
	v_fma_f32 v129, v18, v5, -v4
	v_add_f32_e32 v3, v16, v3
	v_fma_f32 v4, 0xbeb58ec6, v15, -v123
	v_add_f32_e32 v16, v24, v34
	v_mul_f32_e32 v130, 0x3eedf032, v128
	v_sub_f32_e32 v132, v75, v74
	v_mul_f32_e32 v6, 0xbf29c268, v28
	v_mul_f32_e32 v73, 0xbf29c268, v9
	v_add_f32_e32 v131, v124, v129
	v_add_f32_e32 v3, v4, v3
	v_fma_f32 v4, 0x3f62ad3f, v16, -v130
	v_add_f32_e32 v17, v27, v115
	v_mul_f32_e32 v133, 0xbf52af12, v132
	v_fmamk_f32 v5, v106, 0xbf3f9e67, v6
	v_mul_f32_e32 v7, 0x3f7e222b, v12
	v_fmamk_f32 v18, v131, 0xbf3f9e67, v73
	v_add_f32_e32 v4, v4, v3
	v_fma_f32 v19, 0x3f116cb1, v17, -v133
	v_add_f32_e32 v5, v1, v5
	v_fmamk_f32 v20, v79, 0x3df6dbef, v7
	v_mul_f32_e32 v21, 0xbf52af12, v13
	v_sub_f32_e32 v134, v129, v124
	v_add_f32_e32 v3, v18, v2
	v_add_f32_e32 v2, v19, v4
	;; [unrolled: 1-line block ×3, first 2 shown]
	v_fmamk_f32 v5, v114, 0x3f116cb1, v21
	v_mul_f32_e32 v19, 0x3e750f2a, v10
	v_add_f32_e32 v18, v117, v116
	v_mul_f32_e32 v135, 0xbf29c268, v134
	v_mul_f32_e32 v20, 0xbf29c268, v119
	v_add_f32_e32 v4, v5, v4
	v_fmamk_f32 v5, v72, 0xbf788fa5, v19
	v_mul_f32_e32 v22, 0x3eedf032, v8
	v_fma_f32 v136, 0xbf3f9e67, v18, -v135
	v_fma_f32 v137, 0xbf3f9e67, v11, -v20
	v_mul_f32_e32 v138, 0x3f7e222b, v120
	v_add_f32_e32 v4, v5, v4
	v_fmamk_f32 v5, v118, 0x3f62ad3f, v22
	v_add_f32_e32 v2, v136, v2
	v_add_f32_e32 v136, v0, v137
	v_fma_f32 v137, 0x3df6dbef, v14, -v138
	v_mul_f32_e32 v139, 0xbf52af12, v122
	v_add_f32_e32 v4, v5, v4
	v_mul_f32_e32 v141, 0xbf788fa5, v106
	v_mul_f32_e32 v140, 0xbf6f5d39, v9
	v_add_f32_e32 v5, v137, v136
	v_fma_f32 v136, 0x3f116cb1, v15, -v139
	v_mul_f32_e32 v137, 0x3e750f2a, v128
	v_fmamk_f32 v143, v28, 0x3e750f2a, v141
	v_mul_f32_e32 v144, 0x3f62ad3f, v79
	v_mul_f32_e32 v145, 0x3eedf032, v132
	v_add_f32_e32 v5, v136, v5
	v_fma_f32 v136, 0xbf788fa5, v16, -v137
	v_fmamk_f32 v142, v131, 0xbeb58ec6, v140
	v_add_f32_e32 v143, v1, v143
	v_fmamk_f32 v146, v12, 0xbeedf032, v144
	v_mul_f32_e32 v147, 0xbf3f9e67, v114
	v_add_f32_e32 v136, v136, v5
	v_fma_f32 v148, 0x3f62ad3f, v17, -v145
	v_add_f32_e32 v5, v142, v4
	v_add_f32_e32 v4, v146, v143
	v_fmamk_f32 v142, v13, 0x3f29c268, v147
	v_mul_f32_e32 v143, 0x3f116cb1, v72
	v_add_f32_e32 v136, v148, v136
	v_mul_f32_e32 v146, 0xbf6f5d39, v134
	v_mul_f32_e32 v148, 0xbe750f2a, v119
	v_add_f32_e32 v4, v142, v4
	v_fmamk_f32 v142, v10, 0xbf52af12, v143
	v_mul_f32_e32 v149, 0xbeb58ec6, v118
	v_fma_f32 v150, 0xbeb58ec6, v18, -v146
	v_fmamk_f32 v151, v11, 0xbf788fa5, v148
	v_mul_f32_e32 v152, 0x3eedf032, v120
	v_add_f32_e32 v142, v142, v4
	v_fmamk_f32 v153, v8, 0x3f6f5d39, v149
	v_add_f32_e32 v4, v150, v136
	v_add_f32_e32 v136, v0, v151
	v_fmamk_f32 v150, v14, 0x3f62ad3f, v152
	v_mul_f32_e32 v151, 0xbf29c268, v122
	v_add_f32_e32 v142, v153, v142
	v_mul_f32_e32 v153, 0x3df6dbef, v131
	v_fma_f32 v6, 0xbf3f9e67, v106, -v6
	v_add_f32_e32 v136, v150, v136
	v_fmamk_f32 v150, v15, 0xbf3f9e67, v151
	v_mul_f32_e32 v154, 0x3f52af12, v128
	v_fmamk_f32 v155, v9, 0xbf7e222b, v153
	v_add_f32_e32 v6, v1, v6
	v_fma_f32 v156, 0x3df6dbef, v79, -v7
	v_add_f32_e32 v136, v150, v136
	v_fmamk_f32 v150, v16, 0x3f116cb1, v154
	v_mul_f32_e32 v157, 0xbf6f5d39, v132
	v_add_f32_e32 v7, v155, v142
	v_add_f32_e32 v6, v156, v6
	v_fma_f32 v21, 0x3f116cb1, v114, -v21
	v_add_f32_e32 v136, v150, v136
	v_fmamk_f32 v142, v17, 0xbeb58ec6, v157
	v_fmac_f32_e32 v20, 0xbf3f9e67, v11
	v_mul_f32_e32 v150, 0x3f7e222b, v134
	v_add_f32_e32 v6, v21, v6
	v_fma_f32 v19, 0xbf788fa5, v72, -v19
	v_add_f32_e32 v21, v142, v136
	v_add_f32_e32 v20, v0, v20
	v_fmac_f32_e32 v138, 0x3df6dbef, v14
	v_fmamk_f32 v136, v18, 0x3df6dbef, v150
	v_mul_f32_e32 v142, 0xbeb58ec6, v106
	v_add_f32_e32 v19, v19, v6
	v_fma_f32 v22, 0x3f62ad3f, v118, -v22
	v_add_f32_e32 v20, v138, v20
	v_fmac_f32_e32 v139, 0x3f116cb1, v15
	v_add_f32_e32 v6, v136, v21
	v_fmamk_f32 v21, v28, 0x3f6f5d39, v142
	v_mul_f32_e32 v136, 0xbf3f9e67, v79
	v_add_f32_e32 v19, v22, v19
	v_add_f32_e32 v20, v139, v20
	v_fmac_f32_e32 v137, 0xbf788fa5, v16
	v_add_f32_e32 v21, v1, v21
	v_fmamk_f32 v22, v12, 0xbf29c268, v136
	v_mul_f32_e32 v138, 0x3f62ad3f, v114
	v_fma_f32 v139, 0xbeb58ec6, v131, -v140
	v_add_f32_e32 v137, v137, v20
	v_fmac_f32_e32 v145, 0x3f62ad3f, v17
	v_add_f32_e32 v21, v22, v21
	v_fmamk_f32 v22, v13, 0xbeedf032, v138
	v_mul_f32_e32 v140, 0x3df6dbef, v72
	v_add_f32_e32 v20, v139, v19
	v_add_f32_e32 v19, v145, v137
	v_mul_f32_e32 v137, 0xbf6f5d39, v119
	v_add_f32_e32 v21, v22, v21
	v_fmamk_f32 v22, v10, 0x3f7e222b, v140
	v_mul_f32_e32 v139, 0xbf788fa5, v118
	v_fmac_f32_e32 v146, 0xbeb58ec6, v18
	v_fmamk_f32 v145, v11, 0xbeb58ec6, v137
	v_mul_f32_e32 v155, 0x3f29c268, v120
	v_add_f32_e32 v21, v22, v21
	v_fmamk_f32 v22, v8, 0xbe750f2a, v139
	v_add_f32_e32 v19, v146, v19
	v_add_f32_e32 v145, v0, v145
	v_fmamk_f32 v146, v14, 0xbf3f9e67, v155
	v_mul_f32_e32 v156, 0x3eedf032, v122
	v_add_f32_e32 v21, v22, v21
	v_mul_f32_e32 v158, 0x3f116cb1, v131
	v_fma_f32 v22, 0x3df6dbef, v106, -v113
	v_add_f32_e32 v113, v146, v145
	v_fmamk_f32 v145, v15, 0x3f62ad3f, v156
	v_mul_f32_e32 v146, 0xbf7e222b, v128
	v_fmamk_f32 v159, v9, 0xbf52af12, v158
	v_add_f32_e32 v160, v1, v22
	v_fma_f32 v76, 0xbf788fa5, v79, -v76
	v_add_f32_e32 v113, v145, v113
	v_fmamk_f32 v145, v16, 0x3df6dbef, v146
	v_mul_f32_e32 v161, 0x3e750f2a, v132
	v_add_f32_e32 v22, v159, v21
	v_add_f32_e32 v21, v76, v160
	v_fma_f32 v76, 0xbeb58ec6, v114, -v77
	v_fmac_f32_e32 v33, 0x3df6dbef, v11
	v_add_f32_e32 v77, v145, v113
	v_fmamk_f32 v113, v17, 0xbf788fa5, v161
	v_mul_f32_e32 v145, 0x3f52af12, v134
	v_add_f32_e32 v21, v76, v21
	v_fma_f32 v23, 0x3f62ad3f, v72, -v23
	v_add_f32_e32 v33, v0, v33
	v_fmac_f32_e32 v121, 0xbf788fa5, v14
	v_add_f32_e32 v76, v113, v77
	v_fmamk_f32 v77, v18, 0x3f116cb1, v145
	v_add_f32_e32 v23, v23, v21
	v_mul_f32_e32 v113, 0x3f116cb1, v106
	v_fma_f32 v32, 0x3f116cb1, v118, -v32
	v_add_f32_e32 v33, v121, v33
	v_fmac_f32_e32 v123, 0xbeb58ec6, v15
	v_add_f32_e32 v21, v77, v76
	v_fmamk_f32 v76, v28, 0x3f52af12, v113
	v_mul_f32_e32 v77, 0xbeb58ec6, v79
	v_add_f32_e32 v23, v32, v23
	v_add_f32_e32 v32, v123, v33
	v_fmac_f32_e32 v130, 0x3f62ad3f, v16
	v_add_f32_e32 v33, v1, v76
	v_fmamk_f32 v76, v12, 0x3f6f5d39, v77
	v_mul_f32_e32 v121, 0xbf788fa5, v114
	v_fma_f32 v73, 0xbf3f9e67, v131, -v73
	v_add_f32_e32 v32, v130, v32
	v_fmac_f32_e32 v133, 0x3f116cb1, v17
	v_add_f32_e32 v76, v76, v33
	v_fmamk_f32 v123, v13, 0x3e750f2a, v121
	v_mul_f32_e32 v130, 0xbf3f9e67, v72
	v_add_f32_e32 v33, v73, v23
	v_add_f32_e32 v23, v133, v32
	v_mul_f32_e32 v133, 0xbf52af12, v119
	v_add_f32_e32 v32, v123, v76
	v_fmamk_f32 v73, v10, 0xbf29c268, v130
	v_fmac_f32_e32 v135, 0xbf3f9e67, v18
	v_mul_f32_e32 v159, 0xbf6f5d39, v120
	v_fmamk_f32 v123, v11, 0x3f116cb1, v133
	v_mul_f32_e32 v76, 0x3df6dbef, v118
	v_add_f32_e32 v73, v73, v32
	v_add_f32_e32 v32, v135, v23
	v_mul_f32_e32 v135, 0xbe750f2a, v122
	v_add_f32_e32 v23, v0, v123
	v_fmamk_f32 v123, v14, 0xbeb58ec6, v159
	v_mul_f32_e32 v106, 0x3f62ad3f, v106
	v_fmamk_f32 v160, v8, 0xbf7e222b, v76
	v_mul_f32_e32 v162, 0x3f29c268, v128
	v_mul_f32_e32 v79, 0x3f116cb1, v79
	v_add_f32_e32 v23, v123, v23
	v_fmamk_f32 v123, v15, 0xbf788fa5, v135
	v_fmamk_f32 v164, v28, 0x3eedf032, v106
	v_add_f32_e32 v73, v160, v73
	v_mul_f32_e32 v160, 0x3f62ad3f, v131
	v_mul_f32_e32 v165, 0x3f7e222b, v132
	v_add_f32_e32 v23, v123, v23
	v_fmamk_f32 v123, v16, 0xbf3f9e67, v162
	v_add_f32_e32 v164, v1, v164
	v_fmamk_f32 v166, v12, 0x3f52af12, v79
	v_mul_f32_e32 v114, 0x3df6dbef, v114
	v_add_f32_e32 v105, v105, v1
	v_fmamk_f32 v163, v9, 0xbeedf032, v160
	v_add_f32_e32 v23, v123, v23
	v_fmamk_f32 v123, v17, 0x3df6dbef, v165
	v_mul_f32_e32 v167, 0x3eedf032, v134
	v_add_f32_e32 v164, v166, v164
	v_fmamk_f32 v166, v13, 0x3f7e222b, v114
	v_mul_f32_e32 v168, 0xbeb58ec6, v72
	v_add_f32_e32 v78, v78, v105
	v_add_f32_e32 v105, v0, v112
	;; [unrolled: 1-line block ×3, first 2 shown]
	v_fmamk_f32 v72, v18, 0x3f62ad3f, v167
	v_add_f32_e32 v73, v163, v73
	v_add_f32_e32 v123, v166, v164
	v_fmamk_f32 v163, v10, 0x3f6f5d39, v168
	v_mul_f32_e32 v119, 0xbeedf032, v119
	v_add_f32_e32 v35, v35, v78
	v_add_f32_e32 v39, v39, v105
	;; [unrolled: 1-line block ×3, first 2 shown]
	v_mul_f32_e32 v118, 0xbf3f9e67, v118
	v_add_f32_e32 v23, v163, v123
	v_fmamk_f32 v123, v11, 0x3f62ad3f, v119
	v_mul_f32_e32 v120, 0xbf52af12, v120
	v_add_f32_e32 v26, v26, v35
	v_add_f32_e32 v35, v37, v39
	v_fmamk_f32 v112, v8, 0x3f29c268, v118
	v_add_f32_e32 v78, v0, v123
	v_fmamk_f32 v105, v14, 0x3f116cb1, v120
	v_mul_f32_e32 v39, 0xbf788fa5, v131
	v_add_f32_e32 v26, v75, v26
	v_add_f32_e32 v34, v34, v35
	;; [unrolled: 1-line block ×3, first 2 shown]
	v_mul_f32_e32 v37, 0xbf7e222b, v122
	v_add_f32_e32 v78, v105, v78
	v_fmamk_f32 v105, v9, 0x3e750f2a, v39
	v_add_f32_e32 v112, v129, v26
	v_add_f32_e32 v34, v115, v34
	v_fmamk_f32 v35, v15, 0x3df6dbef, v37
	v_mul_f32_e32 v75, 0xbf6f5d39, v128
	v_add_f32_e32 v26, v105, v23
	v_add_f32_e32 v23, v124, v112
	v_add_f32_e32 v34, v116, v34
	v_fmac_f32_e32 v141, 0xbe750f2a, v28
	v_add_f32_e32 v35, v35, v78
	v_fmamk_f32 v78, v16, 0xbeb58ec6, v75
	v_add_f32_e32 v23, v74, v23
	v_add_f32_e32 v34, v117, v34
	;; [unrolled: 1-line block ×3, first 2 shown]
	v_fmac_f32_e32 v144, 0x3eedf032, v12
	v_add_f32_e32 v35, v78, v35
	v_mul_f32_e32 v78, 0xbf29c268, v132
	v_add_f32_e32 v23, v30, v23
	v_add_f32_e32 v27, v27, v34
	;; [unrolled: 1-line block ×3, first 2 shown]
	v_fmac_f32_e32 v147, 0xbf29c268, v13
	v_fmamk_f32 v105, v17, 0xbf3f9e67, v78
	v_mul_f32_e32 v112, 0xbe750f2a, v134
	v_add_f32_e32 v24, v24, v27
	v_fmac_f32_e32 v143, 0x3f52af12, v10
	v_add_f32_e32 v27, v147, v30
	v_add_f32_e32 v34, v105, v35
	v_fmamk_f32 v35, v18, 0xbf788fa5, v112
	v_add_f32_e32 v23, v25, v23
	v_fma_f32 v30, 0xbf788fa5, v11, -v148
	v_add_f32_e32 v27, v143, v27
	v_fmac_f32_e32 v149, 0xbf6f5d39, v8
	v_add_f32_e32 v25, v35, v34
	v_add_f32_e32 v23, v36, v23
	v_add_f32_e32 v31, v31, v24
	v_add_f32_e32 v30, v0, v30
	v_fma_f32 v34, 0x3f62ad3f, v14, -v152
	v_add_f32_e32 v27, v149, v27
	v_fmac_f32_e32 v153, 0x3f7e222b, v9
	v_add_f32_e32 v24, v38, v23
	v_add_f32_e32 v23, v29, v31
	;; [unrolled: 1-line block ×3, first 2 shown]
	v_fma_f32 v31, 0xbf3f9e67, v15, -v151
	v_fmac_f32_e32 v142, 0xbf6f5d39, v28
	v_add_f32_e32 v30, v153, v27
	v_fma_f32 v27, 0xbeb58ec6, v11, -v137
	v_fmac_f32_e32 v136, 0x3f29c268, v12
	v_add_f32_e32 v29, v31, v29
	v_fma_f32 v31, 0x3f116cb1, v16, -v154
	v_add_f32_e32 v34, v1, v142
	v_add_f32_e32 v27, v0, v27
	v_fma_f32 v35, 0xbf3f9e67, v14, -v155
	v_fmac_f32_e32 v138, 0x3eedf032, v13
	v_add_f32_e32 v29, v31, v29
	v_fma_f32 v31, 0xbeb58ec6, v17, -v157
	v_add_f32_e32 v34, v136, v34
	;; [unrolled: 6-line block ×3, first 2 shown]
	v_add_f32_e32 v27, v35, v27
	v_fma_f32 v35, 0x3df6dbef, v16, -v146
	v_fmac_f32_e32 v113, 0xbf52af12, v28
	v_add_f32_e32 v29, v31, v29
	v_add_f32_e32 v31, v140, v34
	v_fmac_f32_e32 v139, 0x3e750f2a, v8
	v_add_f32_e32 v27, v35, v27
	v_fma_f32 v34, 0xbf788fa5, v17, -v161
	v_add_f32_e32 v35, v1, v113
	v_fmac_f32_e32 v77, 0xbf6f5d39, v12
	v_fma_f32 v36, 0x3f116cb1, v11, -v133
	v_add_f32_e32 v31, v139, v31
	v_fmac_f32_e32 v158, 0x3f52af12, v9
	v_add_f32_e32 v27, v34, v27
	v_add_f32_e32 v34, v77, v35
	v_fmac_f32_e32 v121, 0xbe750f2a, v13
	v_fma_f32 v38, 0x3f116cb1, v18, -v145
	v_add_f32_e32 v36, v0, v36
	v_fma_f32 v74, 0xbeb58ec6, v14, -v159
	v_add_f32_e32 v35, v158, v31
	v_add_f32_e32 v31, v121, v34
	;; [unrolled: 1-line block ×3, first 2 shown]
	v_fmac_f32_e32 v106, 0xbeedf032, v28
	v_add_f32_e32 v27, v74, v36
	v_fma_f32 v36, 0xbf788fa5, v15, -v135
	v_fma_f32 v11, 0x3f62ad3f, v11, -v119
	v_fmac_f32_e32 v79, 0xbf52af12, v12
	v_add_f32_e32 v1, v1, v106
	v_fma_f32 v12, 0xbf3f9e67, v16, -v162
	v_add_f32_e32 v27, v36, v27
	v_add_f32_e32 v0, v0, v11
	v_fma_f32 v11, 0x3f116cb1, v14, -v120
	v_add_f32_e32 v1, v79, v1
	v_fmac_f32_e32 v114, 0xbf7e222b, v13
	v_add_f32_e32 v12, v12, v27
	v_fma_f32 v13, 0x3df6dbef, v17, -v165
	v_add_f32_e32 v0, v11, v0
	v_fma_f32 v11, 0x3df6dbef, v15, -v37
	v_fmac_f32_e32 v130, 0x3f29c268, v10
	v_add_f32_e32 v1, v114, v1
	v_fmac_f32_e32 v168, 0xbf6f5d39, v10
	v_fma_f32 v10, 0xbeb58ec6, v16, -v75
	v_add_f32_e32 v0, v11, v0
	v_add_f32_e32 v11, v13, v12
	v_mov_b32_e32 v12, 0x9c
	v_add_f32_e32 v28, v130, v31
	v_fmac_f32_e32 v76, 0x3f7e222b, v8
	v_add_f32_e32 v1, v168, v1
	v_fmac_f32_e32 v118, 0xbf29c268, v8
	v_add_f32_e32 v0, v10, v0
	v_fma_f32 v8, 0xbf3f9e67, v17, -v78
	v_mul_u32_u24_sdwa v12, v110, v12 dst_sel:DWORD dst_unused:UNUSED_PAD src0_sel:WORD_0 src1_sel:DWORD
	v_add_f32_e32 v23, v111, v23
	v_add_f32_e32 v14, v76, v28
	v_fmac_f32_e32 v160, 0x3eedf032, v9
	v_fma_f32 v10, 0x3f62ad3f, v18, -v167
	v_add_f32_e32 v13, v118, v1
	v_fmac_f32_e32 v39, 0xbe750f2a, v9
	v_add_f32_e32 v8, v8, v0
	v_fma_f32 v15, 0xbf788fa5, v18, -v112
	v_add_lshl_u32 v12, v12, v109, 3
	v_add_f32_e32 v1, v160, v14
	v_add_f32_e32 v0, v10, v11
	;; [unrolled: 1-line block ×4, first 2 shown]
	ds_write2_b64 v12, v[23:24], v[25:26] offset1:12
	ds_write2_b64 v12, v[72:73], v[32:33] offset0:24 offset1:36
	ds_write2_b64 v12, v[21:22], v[19:20] offset0:48 offset1:60
	;; [unrolled: 1-line block ×5, first 2 shown]
	ds_write_b64 v12, v[8:9] offset:1152
.LBB0_9:
	s_or_b32 exec_lo, exec_lo, s0
	v_add_nc_u32_e32 v1, 0xc00, v108
	v_add_nc_u32_e32 v2, 0x1c00, v108
	s_waitcnt lgkmcnt(0)
	s_barrier
	buffer_gl0_inv
	ds_read2_b64 v[4:7], v1 offset0:84 offset1:201
	ds_read2_b64 v[8:11], v2 offset0:40 offset1:157
	v_add_nc_u32_e32 v28, 0x1400, v108
	v_add_nc_u32_e32 v0, 0x2400, v108
	v_add_nc_u32_e32 v3, 0x400, v108
	s_mov_b32 s0, 0xc201756d
	s_mov_b32 s1, 0x3f4756ca
	ds_read2_b64 v[12:15], v28 offset0:62 offset1:179
	ds_read2_b64 v[16:19], v108 offset1:117
	ds_read2_b64 v[20:23], v0 offset0:18 offset1:135
	ds_read2_b64 v[24:27], v3 offset0:106 offset1:223
	s_waitcnt lgkmcnt(0)
	s_barrier
	buffer_gl0_inv
	s_mul_hi_u32 s4, s8, 0xffffedb8
	s_mul_i32 s5, s9, 0xffffedb8
	s_sub_i32 s4, s4, s8
	s_add_i32 s4, s4, s5
	s_mul_i32 s5, s8, 0xffffedb8
	v_mul_f32_e32 v29, v41, v5
	v_mul_f32_e32 v30, v41, v4
	v_mul_f32_e32 v31, v43, v9
	v_mul_f32_e32 v32, v43, v8
	v_mul_f32_e32 v33, v53, v7
	v_mul_f32_e32 v34, v53, v6
	v_fmac_f32_e32 v29, v40, v4
	v_fma_f32 v5, v40, v5, -v30
	v_fmac_f32_e32 v31, v42, v8
	v_fma_f32 v9, v42, v9, -v32
	v_fmac_f32_e32 v33, v52, v6
	v_mul_f32_e32 v4, v51, v20
	v_mul_f32_e32 v6, v45, v14
	;; [unrolled: 1-line block ×6, first 2 shown]
	v_fma_f32 v30, v52, v7, -v34
	v_mul_f32_e32 v32, v51, v21
	v_fma_f32 v21, v50, v21, -v4
	v_mul_f32_e32 v4, v47, v22
	v_fma_f32 v39, v44, v15, -v6
	v_add_f32_e32 v6, v29, v31
	v_add_f32_e32 v7, v16, v29
	;; [unrolled: 1-line block ×3, first 2 shown]
	v_fmac_f32_e32 v35, v54, v10
	v_fma_f32 v11, v54, v11, -v36
	v_fmac_f32_e32 v37, v48, v12
	v_fma_f32 v34, v48, v13, -v38
	v_mul_f32_e32 v38, v47, v23
	v_fma_f32 v23, v46, v23, -v4
	v_fma_f32 v4, -0.5, v6, v16
	v_sub_f32_e32 v10, v5, v9
	v_add_f32_e32 v6, v7, v31
	v_add_f32_e32 v7, v17, v5
	v_fma_f32 v5, -0.5, v8, v17
	v_sub_f32_e32 v12, v29, v31
	v_mul_f32_e32 v36, v45, v15
	v_fmamk_f32 v8, v10, 0xbf5db3d7, v4
	v_fmac_f32_e32 v4, 0x3f5db3d7, v10
	v_add_f32_e32 v7, v7, v9
	v_add_f32_e32 v10, v33, v35
	v_fmamk_f32 v9, v12, 0x3f5db3d7, v5
	v_add_f32_e32 v13, v18, v33
	v_fmac_f32_e32 v5, 0xbf5db3d7, v12
	v_add_f32_e32 v12, v30, v11
	v_fmac_f32_e32 v32, v50, v20
	v_fmac_f32_e32 v36, v44, v14
	v_fma_f32 v18, -0.5, v10, v18
	v_sub_f32_e32 v14, v30, v11
	v_add_f32_e32 v10, v13, v35
	v_add_f32_e32 v13, v19, v30
	v_fmac_f32_e32 v19, -0.5, v12
	v_sub_f32_e32 v15, v33, v35
	v_fmamk_f32 v12, v14, 0xbf5db3d7, v18
	v_fmac_f32_e32 v18, 0x3f5db3d7, v14
	v_add_f32_e32 v11, v13, v11
	v_add_f32_e32 v14, v37, v32
	v_fmamk_f32 v13, v15, 0x3f5db3d7, v19
	v_fmac_f32_e32 v19, 0xbf5db3d7, v15
	v_add_f32_e32 v15, v34, v21
	v_fmac_f32_e32 v38, v46, v22
	v_add_f32_e32 v16, v24, v37
	v_fma_f32 v14, -0.5, v14, v24
	v_sub_f32_e32 v17, v34, v21
	v_add_f32_e32 v22, v25, v34
	v_fma_f32 v15, -0.5, v15, v25
	v_sub_f32_e32 v24, v37, v32
	v_add_f32_e32 v25, v26, v36
	v_fmamk_f32 v20, v17, 0xbf5db3d7, v14
	v_fmac_f32_e32 v14, 0x3f5db3d7, v17
	v_add_f32_e32 v17, v22, v21
	v_add_f32_e32 v22, v36, v38
	v_fmamk_f32 v21, v24, 0x3f5db3d7, v15
	v_fmac_f32_e32 v15, 0xbf5db3d7, v24
	v_add_f32_e32 v24, v39, v23
	v_sub_f32_e32 v29, v39, v23
	v_fma_f32 v26, -0.5, v22, v26
	v_add_f32_e32 v30, v27, v39
	v_sub_f32_e32 v31, v36, v38
	v_fmac_f32_e32 v27, -0.5, v24
	v_add_f32_e32 v16, v16, v32
	v_add_f32_e32 v22, v25, v38
	v_fmamk_f32 v24, v29, 0xbf5db3d7, v26
	v_add_f32_e32 v23, v30, v23
	v_fmamk_f32 v25, v31, 0x3f5db3d7, v27
	ds_write2_b64 v108, v[6:7], v[8:9] offset1:156
	ds_write_b64 v108, v[4:5] offset:2496
	v_add_nc_u32_e32 v4, 0x1c00, v125
	v_fmac_f32_e32 v26, 0x3f5db3d7, v29
	v_fmac_f32_e32 v27, 0xbf5db3d7, v31
	ds_write2_b64 v126, v[10:11], v[12:13] offset1:156
	ds_write_b64 v126, v[18:19] offset:2496
	ds_write2_b64 v127, v[16:17], v[20:21] offset1:156
	ds_write_b64 v127, v[14:15] offset:2496
	ds_write2_b64 v4, v[22:23], v[24:25] offset0:40 offset1:196
	ds_write_b64 v125, v[26:27] offset:9984
	s_waitcnt lgkmcnt(0)
	s_barrier
	buffer_gl0_inv
	ds_read2_b64 v[4:7], v1 offset0:84 offset1:201
	ds_read2_b64 v[8:11], v2 offset0:40 offset1:157
	;; [unrolled: 1-line block ×4, first 2 shown]
	ds_read2_b64 v[20:23], v108 offset1:117
	ds_read2_b64 v[24:27], v3 offset0:106 offset1:223
	s_waitcnt lgkmcnt(5)
	v_mul_f32_e32 v29, v69, v5
	v_mul_f32_e32 v30, v69, v4
	s_waitcnt lgkmcnt(4)
	v_mul_f32_e32 v31, v71, v9
	v_mul_f32_e32 v32, v67, v11
	s_waitcnt lgkmcnt(3)
	v_mul_f32_e32 v34, v61, v13
	v_fmac_f32_e32 v29, v68, v4
	v_mul_f32_e32 v4, v71, v8
	v_fma_f32 v5, v68, v5, -v30
	v_mul_f32_e32 v30, v65, v7
	v_fmac_f32_e32 v31, v70, v8
	v_mul_f32_e32 v8, v65, v6
	v_fma_f32 v9, v70, v9, -v4
	v_mul_f32_e32 v4, v67, v10
	v_fmac_f32_e32 v30, v64, v6
	v_mul_f32_e32 v6, v61, v12
	v_fma_f32 v33, v64, v7, -v8
	s_waitcnt lgkmcnt(2)
	v_mul_f32_e32 v35, v63, v17
	v_fma_f32 v11, v66, v11, -v4
	v_mul_f32_e32 v4, v63, v16
	v_fma_f32 v36, v60, v13, -v6
	v_mul_f32_e32 v6, v57, v14
	s_waitcnt lgkmcnt(1)
	v_add_f32_e32 v7, v20, v29
	v_add_f32_e32 v8, v5, v9
	v_fma_f32 v17, v62, v17, -v4
	v_mul_f32_e32 v4, v59, v18
	v_fma_f32 v39, v56, v15, -v6
	v_add_f32_e32 v6, v29, v31
	v_fmac_f32_e32 v32, v66, v10
	v_fmac_f32_e32 v34, v60, v12
	v_fma_f32 v40, v58, v19, -v4
	v_sub_f32_e32 v10, v5, v9
	v_fma_f32 v4, -0.5, v6, v20
	v_add_f32_e32 v6, v7, v31
	v_add_f32_e32 v7, v21, v5
	v_fma_f32 v5, -0.5, v8, v21
	v_sub_f32_e32 v12, v29, v31
	v_mul_f32_e32 v37, v57, v15
	v_fmamk_f32 v8, v10, 0xbf5db3d7, v4
	v_fmac_f32_e32 v4, 0x3f5db3d7, v10
	v_add_f32_e32 v7, v7, v9
	v_add_f32_e32 v10, v30, v32
	v_fmamk_f32 v9, v12, 0x3f5db3d7, v5
	v_add_f32_e32 v13, v22, v30
	v_fmac_f32_e32 v5, 0xbf5db3d7, v12
	v_add_f32_e32 v12, v33, v11
	v_fmac_f32_e32 v35, v62, v16
	v_fmac_f32_e32 v37, v56, v14
	v_fma_f32 v22, -0.5, v10, v22
	v_sub_f32_e32 v14, v33, v11
	v_add_f32_e32 v10, v13, v32
	v_add_f32_e32 v13, v23, v33
	v_fmac_f32_e32 v23, -0.5, v12
	v_sub_f32_e32 v15, v30, v32
	v_mul_f32_e32 v38, v59, v19
	v_fmamk_f32 v12, v14, 0xbf5db3d7, v22
	v_fmac_f32_e32 v22, 0x3f5db3d7, v14
	v_add_f32_e32 v11, v13, v11
	v_add_f32_e32 v14, v34, v35
	v_fmamk_f32 v13, v15, 0x3f5db3d7, v23
	v_fmac_f32_e32 v23, 0xbf5db3d7, v15
	v_add_f32_e32 v15, v36, v17
	v_fmac_f32_e32 v38, v58, v18
	s_waitcnt lgkmcnt(0)
	v_fma_f32 v14, -0.5, v14, v24
	v_sub_f32_e32 v19, v36, v17
	v_add_f32_e32 v20, v25, v36
	v_fma_f32 v15, -0.5, v15, v25
	v_sub_f32_e32 v21, v34, v35
	v_add_f32_e32 v29, v27, v39
	v_fmamk_f32 v18, v19, 0xbf5db3d7, v14
	v_fmac_f32_e32 v14, 0x3f5db3d7, v19
	v_add_f32_e32 v17, v20, v17
	v_add_f32_e32 v20, v37, v38
	v_fmamk_f32 v19, v21, 0x3f5db3d7, v15
	v_fmac_f32_e32 v15, 0xbf5db3d7, v21
	v_add_f32_e32 v21, v39, v40
	v_add_f32_e32 v16, v24, v34
	;; [unrolled: 1-line block ×3, first 2 shown]
	v_fma_f32 v26, -0.5, v20, v26
	v_sub_f32_e32 v25, v39, v40
	v_fmac_f32_e32 v27, -0.5, v21
	v_sub_f32_e32 v30, v37, v38
	v_add_f32_e32 v21, v29, v40
	v_add_nc_u32_e32 v29, 0x1000, v108
	v_add_f32_e32 v16, v16, v35
	v_add_f32_e32 v20, v24, v38
	v_fmamk_f32 v24, v25, 0xbf5db3d7, v26
	v_fmac_f32_e32 v26, 0x3f5db3d7, v25
	v_fmamk_f32 v25, v30, 0x3f5db3d7, v27
	v_fmac_f32_e32 v27, 0xbf5db3d7, v30
	ds_write_b64 v108, v[8:9] offset:3744
	ds_write_b64 v108, v[4:5] offset:7488
	ds_write2_b64 v108, v[6:7], v[10:11] offset1:117
	ds_write_b64 v108, v[22:23] offset:8424
	ds_write2_b64 v29, v[12:13], v[18:19] offset0:73 offset1:190
	ds_write2_b64 v3, v[16:17], v[20:21] offset0:106 offset1:223
	ds_write_b64 v108, v[24:25] offset:6552
	ds_write2_b64 v0, v[14:15], v[26:27] offset0:18 offset1:135
	s_waitcnt lgkmcnt(0)
	s_barrier
	buffer_gl0_inv
	ds_read2_b64 v[4:7], v108 offset1:117
	ds_read2_b64 v[8:11], v28 offset0:62 offset1:179
	v_mad_u64_u32 v[18:19], null, s8, v107, 0
	s_waitcnt lgkmcnt(1)
	v_mul_f32_e32 v12, v98, v5
	v_mul_f32_e32 v13, v98, v4
	s_waitcnt lgkmcnt(0)
	v_mul_f32_e32 v14, v104, v9
	v_mul_f32_e32 v15, v104, v8
	v_fmac_f32_e32 v12, v97, v4
	v_fma_f32 v13, v97, v5, -v13
	v_fmac_f32_e32 v14, v103, v8
	v_fma_f32 v16, v103, v9, -v15
	v_mad_u64_u32 v[8:9], null, s10, v84, 0
	v_cvt_f64_f32_e32 v[4:5], v12
	v_cvt_f64_f32_e32 v[12:13], v13
	;; [unrolled: 1-line block ×4, first 2 shown]
	v_mad_u64_u32 v[20:21], null, s11, v84, v[9:10]
	v_mul_f32_e32 v21, v96, v7
	v_mul_f32_e32 v9, v96, v6
	v_fmac_f32_e32 v21, v95, v6
	v_fma_f32 v22, v95, v7, -v9
	v_mov_b32_e32 v9, v20
	v_mad_u64_u32 v[6:7], null, s9, v107, v[19:20]
	v_cvt_f64_f32_e32 v[20:21], v21
	v_cvt_f64_f32_e32 v[22:23], v22
	v_lshlrev_b64 v[7:8], 3, v[8:9]
	v_mul_f64 v[4:5], v[4:5], s[0:1]
	v_mul_f64 v[12:13], v[12:13], s[0:1]
	;; [unrolled: 1-line block ×4, first 2 shown]
	v_add_co_u32 v26, vcc_lo, s2, v7
	v_mul_f32_e32 v7, v102, v11
	v_mov_b32_e32 v19, v6
	v_add_co_ci_u32_e32 v27, vcc_lo, s3, v8, vcc_lo
	s_mul_i32 s2, s9, 0x15f0
	v_fmac_f32_e32 v7, v101, v10
	s_mul_hi_u32 s3, s8, 0x15f0
	s_add_i32 s2, s3, s2
	s_mul_i32 s3, s8, 0x15f0
	v_cvt_f32_f64_e32 v24, v[4:5]
	v_mul_f32_e32 v4, v102, v10
	v_cvt_f32_f64_e32 v25, v[12:13]
	v_cvt_f32_f64_e32 v14, v[14:15]
	;; [unrolled: 1-line block ×3, first 2 shown]
	v_mul_f64 v[16:17], v[20:21], s[0:1]
	v_cvt_f64_f32_e32 v[20:21], v7
	v_fma_f32 v8, v101, v11, -v4
	ds_read2_b64 v[3:6], v3 offset0:106 offset1:223
	v_lshlrev_b64 v[12:13], 3, v[18:19]
	v_mul_f64 v[18:19], v[22:23], s[0:1]
	v_cvt_f64_f32_e32 v[22:23], v8
	ds_read2_b64 v[7:10], v2 offset0:40 offset1:157
	v_add_co_u32 v11, vcc_lo, v26, v12
	v_add_co_ci_u32_e32 v12, vcc_lo, v27, v13, vcc_lo
	v_add_co_u32 v26, vcc_lo, v11, s3
	v_add_co_ci_u32_e32 v27, vcc_lo, s2, v12, vcc_lo
	global_store_dwordx2 v[11:12], v[24:25], off
	global_store_dwordx2 v[26:27], v[14:15], off
	v_cvt_f32_f64_e32 v15, v[16:17]
	v_mul_f64 v[11:12], v[20:21], s[0:1]
	s_waitcnt lgkmcnt(1)
	v_mul_f32_e32 v2, v83, v4
	v_add_co_u32 v25, vcc_lo, v26, s5
	v_cvt_f32_f64_e32 v16, v[18:19]
	s_waitcnt lgkmcnt(0)
	v_mul_f32_e32 v14, v100, v7
	v_fmac_f32_e32 v2, v82, v3
	v_mul_f32_e32 v3, v83, v3
	v_mul_f32_e32 v13, v100, v8
	v_mul_f64 v[17:18], v[22:23], s[0:1]
	v_add_co_ci_u32_e32 v26, vcc_lo, s4, v27, vcc_lo
	v_cvt_f64_f32_e32 v[19:20], v2
	v_fma_f32 v2, v82, v4, -v3
	v_fma_f32 v3, v99, v8, -v14
	v_fmac_f32_e32 v13, v99, v7
	v_mul_f32_e32 v29, v92, v5
	v_mul_f32_e32 v31, v94, v9
	v_cvt_f64_f32_e32 v[7:8], v2
	v_cvt_f64_f32_e32 v[23:24], v3
	ds_read2_b64 v[1:4], v1 offset0:84 offset1:201
	v_cvt_f64_f32_e32 v[21:22], v13
	v_cvt_f32_f64_e32 v27, v[11:12]
	ds_read2_b64 v[11:14], v0 offset0:18 offset1:135
	v_mul_f32_e32 v0, v92, v6
	v_fma_f32 v29, v91, v6, -v29
	v_fmac_f32_e32 v0, v91, v5
	v_cvt_f64_f32_e32 v[29:30], v29
	v_cvt_f32_f64_e32 v28, v[17:18]
	v_add_co_u32 v17, vcc_lo, v25, s3
	v_mul_f64 v[19:20], v[19:20], s[0:1]
	v_add_co_ci_u32_e32 v18, vcc_lo, s2, v26, vcc_lo
	global_store_dwordx2 v[25:26], v[15:16], off
	global_store_dwordx2 v[17:18], v[27:28], off
	s_waitcnt lgkmcnt(1)
	v_mul_f32_e32 v33, v86, v1
	v_mul_f32_e32 v32, v86, v2
	s_waitcnt lgkmcnt(0)
	v_mul_f32_e32 v35, v81, v12
	v_mul_f64 v[5:6], v[7:8], s[0:1]
	v_mul_f64 v[7:8], v[21:22], s[0:1]
	v_fma_f32 v2, v85, v2, -v33
	v_mul_f64 v[21:22], v[23:24], s[0:1]
	v_cvt_f64_f32_e32 v[23:24], v0
	v_mul_f32_e32 v0, v94, v10
	v_fmac_f32_e32 v35, v80, v11
	v_cvt_f64_f32_e32 v[33:34], v2
	v_mul_f32_e32 v2, v81, v11
	v_mul_f32_e32 v11, v88, v4
	;; [unrolled: 1-line block ×5, first 2 shown]
	v_fmac_f32_e32 v0, v93, v9
	v_fma_f32 v9, v93, v10, -v31
	v_fmac_f32_e32 v32, v85, v1
	v_fma_f32 v2, v80, v12, -v2
	;; [unrolled: 2-line block ×4, first 2 shown]
	v_cvt_f64_f32_e32 v[0:1], v0
	v_cvt_f64_f32_e32 v[9:10], v9
	;; [unrolled: 1-line block ×9, first 2 shown]
	v_cvt_f32_f64_e32 v4, v[19:20]
	v_mul_f64 v[15:16], v[23:24], s[0:1]
	v_mul_f64 v[19:20], v[29:30], s[0:1]
	v_cvt_f32_f64_e32 v5, v[5:6]
	v_cvt_f32_f64_e32 v6, v[7:8]
	;; [unrolled: 1-line block ×3, first 2 shown]
	v_mul_f64 v[23:24], v[33:34], s[0:1]
	v_add_co_u32 v17, vcc_lo, v17, s5
	v_add_co_ci_u32_e32 v18, vcc_lo, s4, v18, vcc_lo
	v_mul_f64 v[0:1], v[0:1], s[0:1]
	v_mul_f64 v[9:10], v[9:10], s[0:1]
	;; [unrolled: 1-line block ×9, first 2 shown]
	v_add_co_u32 v31, vcc_lo, v17, s3
	v_add_co_ci_u32_e32 v32, vcc_lo, s2, v18, vcc_lo
	v_cvt_f32_f64_e32 v15, v[15:16]
	v_cvt_f32_f64_e32 v16, v[19:20]
	v_add_co_u32 v19, vcc_lo, v31, s5
	v_add_co_ci_u32_e32 v20, vcc_lo, s4, v32, vcc_lo
	global_store_dwordx2 v[17:18], v[4:5], off
	v_add_co_u32 v8, vcc_lo, v19, s3
	v_cvt_f32_f64_e32 v0, v[0:1]
	v_cvt_f32_f64_e32 v1, v[9:10]
	v_add_co_ci_u32_e32 v9, vcc_lo, s2, v20, vcc_lo
	v_cvt_f32_f64_e32 v21, v[21:22]
	v_cvt_f32_f64_e32 v22, v[23:24]
	;; [unrolled: 1-line block ×8, first 2 shown]
	v_add_co_u32 v12, vcc_lo, v8, s5
	v_add_co_ci_u32_e32 v13, vcc_lo, s4, v9, vcc_lo
	global_store_dwordx2 v[31:32], v[6:7], off
	v_add_co_u32 v4, vcc_lo, v12, s3
	v_add_co_ci_u32_e32 v5, vcc_lo, s2, v13, vcc_lo
	global_store_dwordx2 v[19:20], v[15:16], off
	v_add_co_u32 v6, vcc_lo, v4, s5
	v_add_co_ci_u32_e32 v7, vcc_lo, s4, v5, vcc_lo
	v_add_co_u32 v14, vcc_lo, v6, s3
	v_add_co_ci_u32_e32 v15, vcc_lo, s2, v7, vcc_lo
	global_store_dwordx2 v[8:9], v[0:1], off
	global_store_dwordx2 v[12:13], v[21:22], off
	;; [unrolled: 1-line block ×5, first 2 shown]
.LBB0_10:
	s_endpgm
	.section	.rodata,"a",@progbits
	.p2align	6, 0x0
	.amdhsa_kernel bluestein_single_back_len1404_dim1_sp_op_CI_CI
		.amdhsa_group_segment_fixed_size 11232
		.amdhsa_private_segment_fixed_size 0
		.amdhsa_kernarg_size 104
		.amdhsa_user_sgpr_count 6
		.amdhsa_user_sgpr_private_segment_buffer 1
		.amdhsa_user_sgpr_dispatch_ptr 0
		.amdhsa_user_sgpr_queue_ptr 0
		.amdhsa_user_sgpr_kernarg_segment_ptr 1
		.amdhsa_user_sgpr_dispatch_id 0
		.amdhsa_user_sgpr_flat_scratch_init 0
		.amdhsa_user_sgpr_private_segment_size 0
		.amdhsa_wavefront_size32 1
		.amdhsa_uses_dynamic_stack 0
		.amdhsa_system_sgpr_private_segment_wavefront_offset 0
		.amdhsa_system_sgpr_workgroup_id_x 1
		.amdhsa_system_sgpr_workgroup_id_y 0
		.amdhsa_system_sgpr_workgroup_id_z 0
		.amdhsa_system_sgpr_workgroup_info 0
		.amdhsa_system_vgpr_workitem_id 0
		.amdhsa_next_free_vgpr 222
		.amdhsa_next_free_sgpr 20
		.amdhsa_reserve_vcc 1
		.amdhsa_reserve_flat_scratch 0
		.amdhsa_float_round_mode_32 0
		.amdhsa_float_round_mode_16_64 0
		.amdhsa_float_denorm_mode_32 3
		.amdhsa_float_denorm_mode_16_64 3
		.amdhsa_dx10_clamp 1
		.amdhsa_ieee_mode 1
		.amdhsa_fp16_overflow 0
		.amdhsa_workgroup_processor_mode 1
		.amdhsa_memory_ordered 1
		.amdhsa_forward_progress 0
		.amdhsa_shared_vgpr_count 0
		.amdhsa_exception_fp_ieee_invalid_op 0
		.amdhsa_exception_fp_denorm_src 0
		.amdhsa_exception_fp_ieee_div_zero 0
		.amdhsa_exception_fp_ieee_overflow 0
		.amdhsa_exception_fp_ieee_underflow 0
		.amdhsa_exception_fp_ieee_inexact 0
		.amdhsa_exception_int_div_zero 0
	.end_amdhsa_kernel
	.text
.Lfunc_end0:
	.size	bluestein_single_back_len1404_dim1_sp_op_CI_CI, .Lfunc_end0-bluestein_single_back_len1404_dim1_sp_op_CI_CI
                                        ; -- End function
	.section	.AMDGPU.csdata,"",@progbits
; Kernel info:
; codeLenInByte = 15436
; NumSgprs: 22
; NumVgprs: 222
; ScratchSize: 0
; MemoryBound: 0
; FloatMode: 240
; IeeeMode: 1
; LDSByteSize: 11232 bytes/workgroup (compile time only)
; SGPRBlocks: 2
; VGPRBlocks: 27
; NumSGPRsForWavesPerEU: 22
; NumVGPRsForWavesPerEU: 222
; Occupancy: 4
; WaveLimiterHint : 1
; COMPUTE_PGM_RSRC2:SCRATCH_EN: 0
; COMPUTE_PGM_RSRC2:USER_SGPR: 6
; COMPUTE_PGM_RSRC2:TRAP_HANDLER: 0
; COMPUTE_PGM_RSRC2:TGID_X_EN: 1
; COMPUTE_PGM_RSRC2:TGID_Y_EN: 0
; COMPUTE_PGM_RSRC2:TGID_Z_EN: 0
; COMPUTE_PGM_RSRC2:TIDIG_COMP_CNT: 0
	.text
	.p2alignl 6, 3214868480
	.fill 48, 4, 3214868480
	.type	__hip_cuid_932d2c2c0e48e9e,@object ; @__hip_cuid_932d2c2c0e48e9e
	.section	.bss,"aw",@nobits
	.globl	__hip_cuid_932d2c2c0e48e9e
__hip_cuid_932d2c2c0e48e9e:
	.byte	0                               ; 0x0
	.size	__hip_cuid_932d2c2c0e48e9e, 1

	.ident	"AMD clang version 19.0.0git (https://github.com/RadeonOpenCompute/llvm-project roc-6.4.0 25133 c7fe45cf4b819c5991fe208aaa96edf142730f1d)"
	.section	".note.GNU-stack","",@progbits
	.addrsig
	.addrsig_sym __hip_cuid_932d2c2c0e48e9e
	.amdgpu_metadata
---
amdhsa.kernels:
  - .args:
      - .actual_access:  read_only
        .address_space:  global
        .offset:         0
        .size:           8
        .value_kind:     global_buffer
      - .actual_access:  read_only
        .address_space:  global
        .offset:         8
        .size:           8
        .value_kind:     global_buffer
      - .actual_access:  read_only
        .address_space:  global
        .offset:         16
        .size:           8
        .value_kind:     global_buffer
      - .actual_access:  read_only
        .address_space:  global
        .offset:         24
        .size:           8
        .value_kind:     global_buffer
      - .actual_access:  read_only
        .address_space:  global
        .offset:         32
        .size:           8
        .value_kind:     global_buffer
      - .offset:         40
        .size:           8
        .value_kind:     by_value
      - .address_space:  global
        .offset:         48
        .size:           8
        .value_kind:     global_buffer
      - .address_space:  global
        .offset:         56
        .size:           8
        .value_kind:     global_buffer
      - .address_space:  global
        .offset:         64
        .size:           8
        .value_kind:     global_buffer
      - .address_space:  global
        .offset:         72
        .size:           8
        .value_kind:     global_buffer
      - .offset:         80
        .size:           4
        .value_kind:     by_value
      - .address_space:  global
        .offset:         88
        .size:           8
        .value_kind:     global_buffer
      - .address_space:  global
        .offset:         96
        .size:           8
        .value_kind:     global_buffer
    .group_segment_fixed_size: 11232
    .kernarg_segment_align: 8
    .kernarg_segment_size: 104
    .language:       OpenCL C
    .language_version:
      - 2
      - 0
    .max_flat_workgroup_size: 117
    .name:           bluestein_single_back_len1404_dim1_sp_op_CI_CI
    .private_segment_fixed_size: 0
    .sgpr_count:     22
    .sgpr_spill_count: 0
    .symbol:         bluestein_single_back_len1404_dim1_sp_op_CI_CI.kd
    .uniform_work_group_size: 1
    .uses_dynamic_stack: false
    .vgpr_count:     222
    .vgpr_spill_count: 0
    .wavefront_size: 32
    .workgroup_processor_mode: 1
amdhsa.target:   amdgcn-amd-amdhsa--gfx1030
amdhsa.version:
  - 1
  - 2
...

	.end_amdgpu_metadata
